;; amdgpu-corpus repo=ROCm/rocFFT kind=compiled arch=gfx1201 opt=O3
	.text
	.amdgcn_target "amdgcn-amd-amdhsa--gfx1201"
	.amdhsa_code_object_version 6
	.protected	fft_rtc_fwd_len1904_factors_17_2_2_7_4_wgs_119_tpt_119_halfLds_dp_op_CI_CI_unitstride_sbrr_dirReg ; -- Begin function fft_rtc_fwd_len1904_factors_17_2_2_7_4_wgs_119_tpt_119_halfLds_dp_op_CI_CI_unitstride_sbrr_dirReg
	.globl	fft_rtc_fwd_len1904_factors_17_2_2_7_4_wgs_119_tpt_119_halfLds_dp_op_CI_CI_unitstride_sbrr_dirReg
	.p2align	8
	.type	fft_rtc_fwd_len1904_factors_17_2_2_7_4_wgs_119_tpt_119_halfLds_dp_op_CI_CI_unitstride_sbrr_dirReg,@function
fft_rtc_fwd_len1904_factors_17_2_2_7_4_wgs_119_tpt_119_halfLds_dp_op_CI_CI_unitstride_sbrr_dirReg: ; @fft_rtc_fwd_len1904_factors_17_2_2_7_4_wgs_119_tpt_119_halfLds_dp_op_CI_CI_unitstride_sbrr_dirReg
; %bb.0:
	s_clause 0x2
	s_load_b128 s[8:11], s[0:1], 0x0
	s_load_b128 s[4:7], s[0:1], 0x58
	;; [unrolled: 1-line block ×3, first 2 shown]
	v_mul_u32_u24_e32 v1, 0x227, v0
	v_mov_b32_e32 v4, 0
	v_mov_b32_e32 v5, 0
	s_delay_alu instid0(VALU_DEP_3) | instskip(NEXT) | instid1(VALU_DEP_1)
	v_lshrrev_b32_e32 v2, 16, v1
	v_dual_mov_b32 v1, 0 :: v_dual_add_nc_u32 v6, ttmp9, v2
	s_delay_alu instid0(VALU_DEP_1) | instskip(SKIP_2) | instid1(VALU_DEP_1)
	v_mov_b32_e32 v7, v1
	s_wait_kmcnt 0x0
	v_cmp_lt_u64_e64 s2, s[10:11], 2
	s_and_b32 vcc_lo, exec_lo, s2
	s_cbranch_vccnz .LBB0_8
; %bb.1:
	s_load_b64 s[2:3], s[0:1], 0x10
	v_mov_b32_e32 v4, 0
	v_mov_b32_e32 v5, 0
	s_add_nc_u64 s[16:17], s[14:15], 8
	s_add_nc_u64 s[18:19], s[12:13], 8
	s_mov_b64 s[20:21], 1
	s_delay_alu instid0(VALU_DEP_1)
	v_dual_mov_b32 v109, v5 :: v_dual_mov_b32 v108, v4
	s_wait_kmcnt 0x0
	s_add_nc_u64 s[22:23], s[2:3], 8
	s_mov_b32 s3, 0
.LBB0_2:                                ; =>This Inner Loop Header: Depth=1
	s_load_b64 s[24:25], s[22:23], 0x0
                                        ; implicit-def: $vgpr110_vgpr111
	s_mov_b32 s2, exec_lo
	s_wait_kmcnt 0x0
	v_or_b32_e32 v2, s25, v7
	s_delay_alu instid0(VALU_DEP_1)
	v_cmpx_ne_u64_e32 0, v[1:2]
	s_wait_alu 0xfffe
	s_xor_b32 s26, exec_lo, s2
	s_cbranch_execz .LBB0_4
; %bb.3:                                ;   in Loop: Header=BB0_2 Depth=1
	s_cvt_f32_u32 s2, s24
	s_cvt_f32_u32 s27, s25
	s_sub_nc_u64 s[30:31], 0, s[24:25]
	s_wait_alu 0xfffe
	s_delay_alu instid0(SALU_CYCLE_1) | instskip(SKIP_1) | instid1(SALU_CYCLE_2)
	s_fmamk_f32 s2, s27, 0x4f800000, s2
	s_wait_alu 0xfffe
	v_s_rcp_f32 s2, s2
	s_delay_alu instid0(TRANS32_DEP_1) | instskip(SKIP_1) | instid1(SALU_CYCLE_2)
	s_mul_f32 s2, s2, 0x5f7ffffc
	s_wait_alu 0xfffe
	s_mul_f32 s27, s2, 0x2f800000
	s_wait_alu 0xfffe
	s_delay_alu instid0(SALU_CYCLE_2) | instskip(SKIP_1) | instid1(SALU_CYCLE_2)
	s_trunc_f32 s27, s27
	s_wait_alu 0xfffe
	s_fmamk_f32 s2, s27, 0xcf800000, s2
	s_cvt_u32_f32 s29, s27
	s_wait_alu 0xfffe
	s_delay_alu instid0(SALU_CYCLE_1) | instskip(SKIP_1) | instid1(SALU_CYCLE_2)
	s_cvt_u32_f32 s28, s2
	s_wait_alu 0xfffe
	s_mul_u64 s[34:35], s[30:31], s[28:29]
	s_wait_alu 0xfffe
	s_mul_hi_u32 s37, s28, s35
	s_mul_i32 s36, s28, s35
	s_mul_hi_u32 s2, s28, s34
	s_mul_i32 s33, s29, s34
	s_wait_alu 0xfffe
	s_add_nc_u64 s[36:37], s[2:3], s[36:37]
	s_mul_hi_u32 s27, s29, s34
	s_mul_hi_u32 s38, s29, s35
	s_add_co_u32 s2, s36, s33
	s_wait_alu 0xfffe
	s_add_co_ci_u32 s2, s37, s27
	s_mul_i32 s34, s29, s35
	s_add_co_ci_u32 s35, s38, 0
	s_wait_alu 0xfffe
	s_add_nc_u64 s[34:35], s[2:3], s[34:35]
	s_wait_alu 0xfffe
	v_add_co_u32 v2, s2, s28, s34
	s_delay_alu instid0(VALU_DEP_1) | instskip(SKIP_1) | instid1(VALU_DEP_1)
	s_cmp_lg_u32 s2, 0
	s_add_co_ci_u32 s29, s29, s35
	v_readfirstlane_b32 s28, v2
	s_wait_alu 0xfffe
	s_delay_alu instid0(VALU_DEP_1)
	s_mul_u64 s[30:31], s[30:31], s[28:29]
	s_wait_alu 0xfffe
	s_mul_hi_u32 s35, s28, s31
	s_mul_i32 s34, s28, s31
	s_mul_hi_u32 s2, s28, s30
	s_mul_i32 s33, s29, s30
	s_wait_alu 0xfffe
	s_add_nc_u64 s[34:35], s[2:3], s[34:35]
	s_mul_hi_u32 s27, s29, s30
	s_mul_hi_u32 s28, s29, s31
	s_wait_alu 0xfffe
	s_add_co_u32 s2, s34, s33
	s_add_co_ci_u32 s2, s35, s27
	s_mul_i32 s30, s29, s31
	s_add_co_ci_u32 s31, s28, 0
	s_wait_alu 0xfffe
	s_add_nc_u64 s[30:31], s[2:3], s[30:31]
	s_wait_alu 0xfffe
	v_add_co_u32 v8, s2, v2, s30
	s_delay_alu instid0(VALU_DEP_1) | instskip(SKIP_1) | instid1(VALU_DEP_1)
	s_cmp_lg_u32 s2, 0
	s_add_co_ci_u32 s2, s29, s31
	v_mul_hi_u32 v12, v6, v8
	s_wait_alu 0xfffe
	v_mad_co_u64_u32 v[2:3], null, v6, s2, 0
	v_mad_co_u64_u32 v[8:9], null, v7, v8, 0
	;; [unrolled: 1-line block ×3, first 2 shown]
	s_delay_alu instid0(VALU_DEP_3) | instskip(SKIP_1) | instid1(VALU_DEP_4)
	v_add_co_u32 v2, vcc_lo, v12, v2
	s_wait_alu 0xfffd
	v_add_co_ci_u32_e32 v3, vcc_lo, 0, v3, vcc_lo
	s_delay_alu instid0(VALU_DEP_2) | instskip(SKIP_1) | instid1(VALU_DEP_2)
	v_add_co_u32 v2, vcc_lo, v2, v8
	s_wait_alu 0xfffd
	v_add_co_ci_u32_e32 v2, vcc_lo, v3, v9, vcc_lo
	s_wait_alu 0xfffd
	v_add_co_ci_u32_e32 v3, vcc_lo, 0, v11, vcc_lo
	s_delay_alu instid0(VALU_DEP_2) | instskip(SKIP_1) | instid1(VALU_DEP_2)
	v_add_co_u32 v8, vcc_lo, v2, v10
	s_wait_alu 0xfffd
	v_add_co_ci_u32_e32 v9, vcc_lo, 0, v3, vcc_lo
	s_delay_alu instid0(VALU_DEP_2) | instskip(SKIP_1) | instid1(VALU_DEP_3)
	v_mul_lo_u32 v10, s25, v8
	v_mad_co_u64_u32 v[2:3], null, s24, v8, 0
	v_mul_lo_u32 v11, s24, v9
	s_delay_alu instid0(VALU_DEP_2) | instskip(NEXT) | instid1(VALU_DEP_2)
	v_sub_co_u32 v2, vcc_lo, v6, v2
	v_add3_u32 v3, v3, v11, v10
	s_delay_alu instid0(VALU_DEP_1) | instskip(SKIP_1) | instid1(VALU_DEP_1)
	v_sub_nc_u32_e32 v10, v7, v3
	s_wait_alu 0xfffd
	v_subrev_co_ci_u32_e64 v10, s2, s25, v10, vcc_lo
	v_add_co_u32 v11, s2, v8, 2
	s_wait_alu 0xf1ff
	v_add_co_ci_u32_e64 v12, s2, 0, v9, s2
	v_sub_co_u32 v13, s2, v2, s24
	v_sub_co_ci_u32_e32 v3, vcc_lo, v7, v3, vcc_lo
	s_wait_alu 0xf1ff
	v_subrev_co_ci_u32_e64 v10, s2, 0, v10, s2
	s_delay_alu instid0(VALU_DEP_3) | instskip(NEXT) | instid1(VALU_DEP_3)
	v_cmp_le_u32_e32 vcc_lo, s24, v13
	v_cmp_eq_u32_e64 s2, s25, v3
	s_wait_alu 0xfffd
	v_cndmask_b32_e64 v13, 0, -1, vcc_lo
	v_cmp_le_u32_e32 vcc_lo, s25, v10
	s_wait_alu 0xfffd
	v_cndmask_b32_e64 v14, 0, -1, vcc_lo
	v_cmp_le_u32_e32 vcc_lo, s24, v2
	;; [unrolled: 3-line block ×3, first 2 shown]
	s_wait_alu 0xfffd
	v_cndmask_b32_e64 v15, 0, -1, vcc_lo
	v_cmp_eq_u32_e32 vcc_lo, s25, v10
	s_wait_alu 0xf1ff
	s_delay_alu instid0(VALU_DEP_2)
	v_cndmask_b32_e64 v2, v15, v2, s2
	s_wait_alu 0xfffd
	v_cndmask_b32_e32 v10, v14, v13, vcc_lo
	v_add_co_u32 v13, vcc_lo, v8, 1
	s_wait_alu 0xfffd
	v_add_co_ci_u32_e32 v14, vcc_lo, 0, v9, vcc_lo
	s_delay_alu instid0(VALU_DEP_3) | instskip(SKIP_1) | instid1(VALU_DEP_2)
	v_cmp_ne_u32_e32 vcc_lo, 0, v10
	s_wait_alu 0xfffd
	v_dual_cndmask_b32 v3, v14, v12 :: v_dual_cndmask_b32 v10, v13, v11
	v_cmp_ne_u32_e32 vcc_lo, 0, v2
	s_wait_alu 0xfffd
	s_delay_alu instid0(VALU_DEP_2)
	v_dual_cndmask_b32 v111, v9, v3 :: v_dual_cndmask_b32 v110, v8, v10
.LBB0_4:                                ;   in Loop: Header=BB0_2 Depth=1
	s_wait_alu 0xfffe
	s_and_not1_saveexec_b32 s2, s26
	s_cbranch_execz .LBB0_6
; %bb.5:                                ;   in Loop: Header=BB0_2 Depth=1
	v_cvt_f32_u32_e32 v2, s24
	s_sub_co_i32 s26, 0, s24
	v_mov_b32_e32 v111, v1
	s_delay_alu instid0(VALU_DEP_2) | instskip(NEXT) | instid1(TRANS32_DEP_1)
	v_rcp_iflag_f32_e32 v2, v2
	v_mul_f32_e32 v2, 0x4f7ffffe, v2
	s_delay_alu instid0(VALU_DEP_1) | instskip(SKIP_1) | instid1(VALU_DEP_1)
	v_cvt_u32_f32_e32 v2, v2
	s_wait_alu 0xfffe
	v_mul_lo_u32 v3, s26, v2
	s_delay_alu instid0(VALU_DEP_1) | instskip(NEXT) | instid1(VALU_DEP_1)
	v_mul_hi_u32 v3, v2, v3
	v_add_nc_u32_e32 v2, v2, v3
	s_delay_alu instid0(VALU_DEP_1) | instskip(NEXT) | instid1(VALU_DEP_1)
	v_mul_hi_u32 v2, v6, v2
	v_mul_lo_u32 v3, v2, s24
	v_add_nc_u32_e32 v8, 1, v2
	s_delay_alu instid0(VALU_DEP_2) | instskip(NEXT) | instid1(VALU_DEP_1)
	v_sub_nc_u32_e32 v3, v6, v3
	v_subrev_nc_u32_e32 v9, s24, v3
	v_cmp_le_u32_e32 vcc_lo, s24, v3
	s_wait_alu 0xfffd
	s_delay_alu instid0(VALU_DEP_2) | instskip(NEXT) | instid1(VALU_DEP_1)
	v_dual_cndmask_b32 v3, v3, v9 :: v_dual_cndmask_b32 v2, v2, v8
	v_cmp_le_u32_e32 vcc_lo, s24, v3
	s_delay_alu instid0(VALU_DEP_2) | instskip(SKIP_1) | instid1(VALU_DEP_1)
	v_add_nc_u32_e32 v8, 1, v2
	s_wait_alu 0xfffd
	v_cndmask_b32_e32 v110, v2, v8, vcc_lo
.LBB0_6:                                ;   in Loop: Header=BB0_2 Depth=1
	s_wait_alu 0xfffe
	s_or_b32 exec_lo, exec_lo, s2
	v_mul_lo_u32 v8, v111, s24
	s_delay_alu instid0(VALU_DEP_2)
	v_mul_lo_u32 v9, v110, s25
	s_load_b64 s[26:27], s[18:19], 0x0
	v_mad_co_u64_u32 v[2:3], null, v110, s24, 0
	s_load_b64 s[24:25], s[16:17], 0x0
	s_add_nc_u64 s[20:21], s[20:21], 1
	s_add_nc_u64 s[16:17], s[16:17], 8
	s_wait_alu 0xfffe
	v_cmp_ge_u64_e64 s2, s[20:21], s[10:11]
	s_add_nc_u64 s[18:19], s[18:19], 8
	s_add_nc_u64 s[22:23], s[22:23], 8
	v_add3_u32 v3, v3, v9, v8
	v_sub_co_u32 v2, vcc_lo, v6, v2
	s_wait_alu 0xfffd
	s_delay_alu instid0(VALU_DEP_2) | instskip(SKIP_2) | instid1(VALU_DEP_1)
	v_sub_co_ci_u32_e32 v3, vcc_lo, v7, v3, vcc_lo
	s_and_b32 vcc_lo, exec_lo, s2
	s_wait_kmcnt 0x0
	v_mul_lo_u32 v6, s26, v3
	v_mul_lo_u32 v7, s27, v2
	v_mad_co_u64_u32 v[4:5], null, s26, v2, v[4:5]
	v_mul_lo_u32 v3, s24, v3
	v_mul_lo_u32 v8, s25, v2
	v_mad_co_u64_u32 v[108:109], null, s24, v2, v[108:109]
	s_delay_alu instid0(VALU_DEP_4) | instskip(NEXT) | instid1(VALU_DEP_2)
	v_add3_u32 v5, v7, v5, v6
	v_add3_u32 v109, v8, v109, v3
	s_wait_alu 0xfffe
	s_cbranch_vccnz .LBB0_9
; %bb.7:                                ;   in Loop: Header=BB0_2 Depth=1
	v_dual_mov_b32 v6, v110 :: v_dual_mov_b32 v7, v111
	s_branch .LBB0_2
.LBB0_8:
	v_dual_mov_b32 v109, v5 :: v_dual_mov_b32 v108, v4
	v_dual_mov_b32 v111, v7 :: v_dual_mov_b32 v110, v6
.LBB0_9:
	s_load_b64 s[0:1], s[0:1], 0x28
	v_mul_hi_u32 v1, 0x226b903, v0
	s_lshl_b64 s[2:3], s[10:11], 3
                                        ; implicit-def: $vgpr46_vgpr47
                                        ; implicit-def: $vgpr50_vgpr51
                                        ; implicit-def: $vgpr54_vgpr55
                                        ; implicit-def: $vgpr58_vgpr59
                                        ; implicit-def: $vgpr34_vgpr35
                                        ; implicit-def: $vgpr30_vgpr31
                                        ; implicit-def: $vgpr14_vgpr15
                                        ; implicit-def: $vgpr10_vgpr11
                                        ; implicit-def: $vgpr2_vgpr3
                                        ; implicit-def: $vgpr6_vgpr7
                                        ; implicit-def: $vgpr18_vgpr19
                                        ; implicit-def: $vgpr26_vgpr27
                                        ; implicit-def: $vgpr38_vgpr39
                                        ; implicit-def: $vgpr42_vgpr43
                                        ; implicit-def: $vgpr66_vgpr67
                                        ; implicit-def: $vgpr62_vgpr63
                                        ; implicit-def: $vgpr22_vgpr23
	s_delay_alu instid0(VALU_DEP_1) | instskip(NEXT) | instid1(VALU_DEP_1)
	v_mul_u32_u24_e32 v1, 0x77, v1
	v_sub_nc_u32_e32 v112, v0, v1
	s_wait_kmcnt 0x0
	v_cmp_gt_u64_e32 vcc_lo, s[0:1], v[110:111]
	s_delay_alu instid0(VALU_DEP_2) | instskip(NEXT) | instid1(VALU_DEP_1)
	v_cmp_gt_u32_e64 s0, 0x70, v112
	s_and_b32 s1, vcc_lo, s0
	s_wait_alu 0xfffe
	s_and_saveexec_b32 s10, s1
	s_cbranch_execz .LBB0_11
; %bb.10:
	s_add_nc_u64 s[12:13], s[12:13], s[2:3]
	v_mov_b32_e32 v113, 0
	s_load_b64 s[12:13], s[12:13], 0x0
	s_wait_kmcnt 0x0
	v_mul_lo_u32 v2, s13, v110
	v_mul_lo_u32 v3, s12, v111
	v_mad_co_u64_u32 v[0:1], null, s12, v110, 0
	s_delay_alu instid0(VALU_DEP_1) | instskip(SKIP_1) | instid1(VALU_DEP_2)
	v_add3_u32 v1, v1, v3, v2
	v_lshlrev_b64_e32 v[2:3], 4, v[4:5]
	v_lshlrev_b64_e32 v[0:1], 4, v[0:1]
	s_delay_alu instid0(VALU_DEP_1) | instskip(SKIP_1) | instid1(VALU_DEP_2)
	v_add_co_u32 v4, s1, s4, v0
	s_wait_alu 0xf1ff
	v_add_co_ci_u32_e64 v5, s1, s5, v1, s1
	v_lshlrev_b64_e32 v[0:1], 4, v[112:113]
	s_delay_alu instid0(VALU_DEP_3) | instskip(SKIP_1) | instid1(VALU_DEP_3)
	v_add_co_u32 v2, s1, v4, v2
	s_wait_alu 0xf1ff
	v_add_co_ci_u32_e64 v3, s1, v5, v3, s1
	s_delay_alu instid0(VALU_DEP_2) | instskip(SKIP_1) | instid1(VALU_DEP_2)
	v_add_co_u32 v0, s1, v2, v0
	s_wait_alu 0xf1ff
	v_add_co_ci_u32_e64 v1, s1, v3, v1, s1
	s_clause 0x10
	global_load_b128 v[20:23], v[0:1], off
	global_load_b128 v[44:47], v[0:1], off offset:1792
	global_load_b128 v[48:51], v[0:1], off offset:3584
	global_load_b128 v[60:63], v[0:1], off offset:5376
	global_load_b128 v[64:67], v[0:1], off offset:7168
	global_load_b128 v[52:55], v[0:1], off offset:8960
	global_load_b128 v[56:59], v[0:1], off offset:10752
	global_load_b128 v[40:43], v[0:1], off offset:12544
	global_load_b128 v[36:39], v[0:1], off offset:14336
	global_load_b128 v[32:35], v[0:1], off offset:16128
	global_load_b128 v[28:31], v[0:1], off offset:17920
	global_load_b128 v[24:27], v[0:1], off offset:19712
	global_load_b128 v[16:19], v[0:1], off offset:21504
	global_load_b128 v[12:15], v[0:1], off offset:23296
	global_load_b128 v[8:11], v[0:1], off offset:25088
	global_load_b128 v[4:7], v[0:1], off offset:26880
	global_load_b128 v[0:3], v[0:1], off offset:28672
.LBB0_11:
	s_wait_alu 0xfffe
	s_or_b32 exec_lo, exec_lo, s10
	s_wait_loadcnt 0x0
	v_add_f64_e32 v[98:99], v[44:45], v[0:1]
	s_mov_b32 s4, 0x370991
	s_mov_b32 s5, 0x3fedd6d0
	v_add_f64_e64 v[121:122], v[46:47], -v[2:3]
	v_add_f64_e32 v[94:95], v[48:49], v[4:5]
	s_mov_b32 s24, 0x5d8e7cdc
	s_mov_b32 s10, 0x75d4884
	s_mov_b32 s25, 0xbfd71e95
	s_mov_b32 s11, 0x3fe7a5f6
	v_add_f64_e64 v[119:120], v[50:51], -v[6:7]
	v_add_f64_e32 v[90:91], v[8:9], v[60:61]
	s_mov_b32 s26, 0x2a9d6da3
	s_mov_b32 s12, 0x2b2883cd
	;; [unrolled: 6-line block ×5, first 2 shown]
	s_mov_b32 s37, 0xbfeec746
	s_mov_b32 s21, 0xbfe348c8
	v_add_f64_e64 v[92:93], v[58:59], -v[26:27]
	s_mov_b32 s38, 0x6c9a05f6
	s_mov_b32 s22, 0x910ea3b9
	;; [unrolled: 1-line block ×4, first 2 shown]
	s_wait_alu 0xfffe
	v_mul_f64_e32 v[106:107], s[4:5], v[98:99]
	v_add_f64_e64 v[84:85], v[42:43], -v[30:31]
	s_mov_b32 s40, 0x4363dd80
	s_mov_b32 s28, 0x7faef3
	v_mul_f64_e32 v[115:116], s[10:11], v[94:95]
	s_mov_b32 s41, 0xbfe0d888
	s_mov_b32 s29, 0xbfef7484
	v_add_f64_e64 v[78:79], v[38:39], -v[34:35]
	s_mov_b32 s42, 0xacd6c6b4
	s_mov_b32 s43, 0xbfc7851a
	v_mul_f64_e32 v[104:105], s[12:13], v[90:91]
	v_mul_f64_e32 v[96:97], s[16:17], v[86:87]
	;; [unrolled: 1-line block ×4, first 2 shown]
	v_fma_f64 v[68:69], v[121:122], s[24:25], v[106:107]
	v_fma_f64 v[70:71], v[119:120], s[26:27], v[115:116]
	v_fma_f64 v[72:73], v[117:118], s[30:31], v[104:105]
	v_fma_f64 v[74:75], v[100:101], s[34:35], v[96:97]
	v_fma_f64 v[113:114], v[92:93], s[38:39], v[82:83]
	v_add_f64_e32 v[68:69], v[68:69], v[20:21]
	s_delay_alu instid0(VALU_DEP_1) | instskip(SKIP_1) | instid1(VALU_DEP_2)
	v_add_f64_e32 v[68:69], v[70:71], v[68:69]
	v_add_f64_e32 v[70:71], v[28:29], v[40:41]
	v_add_f64_e32 v[68:69], v[72:73], v[68:69]
	v_fma_f64 v[72:73], v[102:103], s[36:37], v[88:89]
	s_delay_alu instid0(VALU_DEP_2) | instskip(NEXT) | instid1(VALU_DEP_4)
	v_add_f64_e32 v[68:69], v[74:75], v[68:69]
	v_mul_f64_e32 v[74:75], s[22:23], v[70:71]
	s_delay_alu instid0(VALU_DEP_2) | instskip(SKIP_1) | instid1(VALU_DEP_3)
	v_add_f64_e32 v[72:73], v[72:73], v[68:69]
	v_add_f64_e32 v[68:69], v[32:33], v[36:37]
	v_fma_f64 v[123:124], v[84:85], s[40:41], v[74:75]
	s_delay_alu instid0(VALU_DEP_3) | instskip(SKIP_1) | instid1(VALU_DEP_3)
	v_add_f64_e32 v[113:114], v[113:114], v[72:73]
	s_wait_alu 0xfffe
	v_mul_f64_e32 v[72:73], s[28:29], v[68:69]
	s_delay_alu instid0(VALU_DEP_2) | instskip(NEXT) | instid1(VALU_DEP_2)
	v_add_f64_e32 v[113:114], v[123:124], v[113:114]
	v_fma_f64 v[123:124], v[78:79], s[42:43], v[72:73]
	s_delay_alu instid0(VALU_DEP_1)
	v_add_f64_e32 v[113:114], v[123:124], v[113:114]
	s_and_saveexec_b32 s1, s0
	s_cbranch_execz .LBB0_13
; %bb.12:
	v_add_f64_e32 v[123:124], v[44:45], v[20:21]
	v_mul_f64_e32 v[125:126], s[42:43], v[121:122]
	v_mul_f64_e32 v[127:128], s[40:41], v[121:122]
	;; [unrolled: 1-line block ×8, first 2 shown]
	s_mov_b32 s45, 0x3fd71e95
	s_mov_b32 s44, s24
	;; [unrolled: 1-line block ×8, first 2 shown]
	v_mul_f64_e32 v[145:146], s[42:43], v[119:120]
	v_mul_f64_e32 v[147:148], s[38:39], v[119:120]
	;; [unrolled: 1-line block ×8, first 2 shown]
	s_mov_b32 s47, 0x3fe58eea
	s_mov_b32 s46, s26
	;; [unrolled: 1-line block ×4, first 2 shown]
	v_mul_f64_e32 v[151:152], s[40:41], v[117:118]
	v_mul_f64_e32 v[153:154], s[34:35], v[117:118]
	v_mul_f64_e32 v[163:164], s[24:25], v[117:118]
	v_mul_f64_e32 v[167:168], s[38:39], v[117:118]
	v_mul_f64_e32 v[183:184], s[30:31], v[117:118]
	v_mul_f64_e32 v[187:188], s[46:47], v[117:118]
	v_mul_f64_e32 v[189:190], s[54:55], v[117:118]
	v_mul_f64_e32 v[117:118], s[52:53], v[117:118]
	s_mov_b32 s51, 0x3fe9895b
	v_add_f64_e32 v[123:124], v[48:49], v[123:124]
	v_fma_f64 v[161:162], v[98:99], s[28:29], v[125:126]
	v_fma_f64 v[125:126], v[98:99], s[28:29], -v[125:126]
	v_fma_f64 v[171:172], v[98:99], s[22:23], v[127:128]
	v_fma_f64 v[127:128], v[98:99], s[22:23], -v[127:128]
	;; [unrolled: 2-line block ×4, first 2 shown]
	v_fma_f64 v[177:178], v[98:99], s[16:17], -v[133:134]
	v_fma_f64 v[133:134], v[98:99], s[16:17], v[133:134]
	v_fma_f64 v[179:180], v[98:99], s[12:13], v[135:136]
	v_fma_f64 v[135:136], v[98:99], s[12:13], -v[135:136]
	v_fma_f64 v[181:182], v[98:99], s[10:11], v[137:138]
	v_add_f64_e64 v[106:107], v[106:107], -v[121:122]
	v_fma_f64 v[98:99], v[98:99], s[10:11], -v[137:138]
	s_mov_b32 s50, s38
	v_fma_f64 v[191:192], v[94:95], s[28:29], v[145:146]
	v_fma_f64 v[145:146], v[94:95], s[28:29], -v[145:146]
	v_fma_f64 v[193:194], v[94:95], s[20:21], v[147:148]
	v_fma_f64 v[147:148], v[94:95], s[20:21], -v[147:148]
	;; [unrolled: 2-line block ×3, first 2 shown]
	v_add_f64_e64 v[115:116], v[115:116], -v[155:156]
	v_fma_f64 v[155:156], v[94:95], s[4:5], v[157:158]
	v_fma_f64 v[157:158], v[94:95], s[4:5], -v[157:158]
	v_fma_f64 v[197:198], v[94:95], s[12:13], v[159:160]
	v_fma_f64 v[159:160], v[94:95], s[12:13], -v[159:160]
	v_fma_f64 v[199:200], v[94:95], s[18:19], v[165:166]
	v_fma_f64 v[165:166], v[94:95], s[18:19], -v[165:166]
	v_fma_f64 v[201:202], v[94:95], s[22:23], v[119:120]
	v_fma_f64 v[94:95], v[94:95], s[22:23], -v[119:120]
	v_mul_f64_e32 v[139:140], s[40:41], v[100:101]
	v_mul_f64_e32 v[141:142], s[30:31], v[100:101]
	v_mul_f64_e32 v[143:144], s[42:43], v[100:101]
	v_mul_f64_e32 v[185:186], s[34:35], v[100:101]
	v_fma_f64 v[203:204], v[90:91], s[16:17], v[153:154]
	v_fma_f64 v[153:154], v[90:91], s[16:17], -v[153:154]
	v_add_f64_e32 v[123:124], v[60:61], v[123:124]
	v_add_f64_e32 v[161:162], v[161:162], v[20:21]
	;; [unrolled: 1-line block ×16, first 2 shown]
	v_fma_f64 v[181:182], v[90:91], s[22:23], v[151:152]
	v_fma_f64 v[151:152], v[90:91], s[22:23], -v[151:152]
	v_fma_f64 v[205:206], v[90:91], s[4:5], v[163:164]
	v_fma_f64 v[163:164], v[90:91], s[4:5], -v[163:164]
	v_fma_f64 v[207:208], v[90:91], s[20:21], v[167:168]
	v_fma_f64 v[167:168], v[90:91], s[20:21], -v[167:168]
	v_add_f64_e64 v[104:105], v[104:105], -v[183:184]
	v_fma_f64 v[183:184], v[90:91], s[10:11], v[187:188]
	v_fma_f64 v[187:188], v[90:91], s[10:11], -v[187:188]
	v_fma_f64 v[209:210], v[90:91], s[18:19], v[189:190]
	v_fma_f64 v[189:190], v[90:91], s[18:19], -v[189:190]
	;; [unrolled: 2-line block ×3, first 2 shown]
	v_mul_f64_e32 v[117:118], s[50:51], v[100:101]
	s_mov_b32 s53, 0x3fefdd0d
	s_mov_b32 s52, s34
	v_mul_f64_e32 v[137:138], s[36:37], v[102:103]
	v_mul_f64_e32 v[169:170], s[40:41], v[84:85]
	v_add_f64_e64 v[96:97], v[96:97], -v[185:186]
	v_add_f64_e32 v[123:124], v[64:65], v[123:124]
	v_add_f64_e32 v[155:156], v[155:156], v[161:162]
	v_mul_f64_e32 v[161:162], s[44:45], v[100:101]
	v_add_f64_e32 v[125:126], v[157:158], v[125:126]
	v_add_f64_e32 v[119:120], v[197:198], v[119:120]
	;; [unrolled: 1-line block ×14, first 2 shown]
	v_mul_f64_e32 v[157:158], s[38:39], v[102:103]
	v_mul_f64_e32 v[115:116], s[24:25], v[102:103]
	;; [unrolled: 1-line block ×4, first 2 shown]
	s_wait_alu 0xfffe
	v_mul_f64_e32 v[175:176], s[52:53], v[102:103]
	v_mul_f64_e32 v[177:178], s[46:47], v[102:103]
	;; [unrolled: 1-line block ×3, first 2 shown]
	v_fma_f64 v[179:180], v[86:87], s[22:23], v[139:140]
	v_fma_f64 v[139:140], v[86:87], s[22:23], -v[139:140]
	v_fma_f64 v[191:192], v[86:87], s[12:13], v[141:142]
	v_fma_f64 v[141:142], v[86:87], s[12:13], -v[141:142]
	;; [unrolled: 2-line block ×4, first 2 shown]
	v_mul_f64_e32 v[173:174], s[42:43], v[92:93]
	v_add_f64_e64 v[88:89], v[88:89], -v[137:138]
	v_add_f64_e64 v[74:75], v[74:75], -v[169:170]
	v_add_f64_e32 v[123:124], v[52:53], v[123:124]
	v_fma_f64 v[197:198], v[86:87], s[4:5], v[161:162]
	v_fma_f64 v[161:162], v[86:87], s[4:5], -v[161:162]
	v_add_f64_e32 v[125:126], v[151:152], v[125:126]
	v_add_f64_e32 v[119:120], v[203:204], v[119:120]
	;; [unrolled: 1-line block ×14, first 2 shown]
	v_mul_f64_e32 v[106:107], s[26:27], v[92:93]
	v_mul_f64_e32 v[147:148], s[40:41], v[92:93]
	;; [unrolled: 1-line block ×4, first 2 shown]
	v_fma_f64 v[137:138], v[80:81], s[20:21], v[157:158]
	v_fma_f64 v[157:158], v[80:81], s[20:21], -v[157:158]
	v_fma_f64 v[167:168], v[80:81], s[4:5], v[115:116]
	v_fma_f64 v[115:116], v[80:81], s[4:5], -v[115:116]
	;; [unrolled: 2-line block ×5, first 2 shown]
	v_fma_f64 v[201:202], v[80:81], s[22:23], v[102:103]
	v_mul_f64_e32 v[159:160], s[36:37], v[84:85]
	v_add_f64_e32 v[123:124], v[56:57], v[123:124]
	v_add_f64_e32 v[119:120], v[195:196], v[119:120]
	;; [unrolled: 1-line block ×4, first 2 shown]
	v_mul_f64_e32 v[141:142], s[36:37], v[78:79]
	v_add_f64_e32 v[127:128], v[191:192], v[153:154]
	v_add_f64_e32 v[20:21], v[143:144], v[20:21]
	v_add_f64_e32 v[96:97], v[96:97], v[104:105]
	v_mul_f64_e32 v[104:105], s[42:43], v[84:85]
	v_mul_f64_e32 v[143:144], s[46:47], v[84:85]
	v_fma_f64 v[153:154], v[76:77], s[10:11], v[106:107]
	v_fma_f64 v[106:107], v[76:77], s[10:11], -v[106:107]
	v_add_f64_e32 v[123:124], v[40:41], v[123:124]
	v_add_f64_e32 v[115:116], v[115:116], v[117:118]
	;; [unrolled: 1-line block ×3, first 2 shown]
	v_mul_f64_e32 v[96:97], s[38:39], v[78:79]
	s_delay_alu instid0(VALU_DEP_4) | instskip(SKIP_1) | instid1(VALU_DEP_2)
	v_add_f64_e32 v[121:122], v[36:37], v[123:124]
	v_mul_f64_e32 v[123:124], s[38:39], v[92:93]
	v_add_f64_e32 v[98:99], v[32:33], v[121:122]
	v_mul_f64_e32 v[121:122], s[46:47], v[100:101]
	v_mul_f64_e32 v[100:101], s[54:55], v[100:101]
	s_delay_alu instid0(VALU_DEP_4)
	v_add_f64_e64 v[82:83], v[82:83], -v[123:124]
	v_fma_f64 v[123:124], v[76:77], s[28:29], v[173:174]
	v_add_f64_e32 v[98:99], v[28:29], v[98:99]
	v_fma_f64 v[185:186], v[86:87], s[10:11], v[121:122]
	v_fma_f64 v[121:122], v[86:87], s[10:11], -v[121:122]
	v_fma_f64 v[199:200], v[86:87], s[18:19], v[100:101]
	v_fma_f64 v[86:87], v[86:87], s[18:19], -v[100:101]
	v_add_f64_e32 v[100:101], v[181:182], v[155:156]
	v_mul_f64_e32 v[155:156], s[24:25], v[92:93]
	v_mul_f64_e32 v[92:93], s[54:55], v[92:93]
	v_fma_f64 v[181:182], v[80:81], s[28:29], v[149:150]
	v_fma_f64 v[149:150], v[80:81], s[28:29], -v[149:150]
	v_fma_f64 v[80:81], v[80:81], s[22:23], -v[102:103]
	v_add_f64_e32 v[82:83], v[82:83], v[88:89]
	v_fma_f64 v[88:89], v[68:69], s[18:19], -v[141:142]
	v_add_f64_e32 v[98:99], v[24:25], v[98:99]
	v_add_f64_e32 v[102:103], v[121:122], v[125:126]
	;; [unrolled: 1-line block ×10, first 2 shown]
	v_mul_f64_e32 v[135:136], s[24:25], v[84:85]
	v_mul_f64_e32 v[139:140], s[34:35], v[84:85]
	;; [unrolled: 1-line block ×4, first 2 shown]
	v_fma_f64 v[151:152], v[76:77], s[28:29], -v[173:174]
	v_fma_f64 v[161:162], v[76:77], s[22:23], v[147:148]
	v_fma_f64 v[147:148], v[76:77], s[22:23], -v[147:148]
	v_fma_f64 v[173:174], v[76:77], s[4:5], v[155:156]
	;; [unrolled: 2-line block ×5, first 2 shown]
	v_fma_f64 v[76:77], v[76:77], s[18:19], -v[92:93]
	v_add_f64_e32 v[94:95], v[149:150], v[94:95]
	v_add_f64_e32 v[20:21], v[80:81], v[20:21]
	v_mul_f64_e32 v[149:150], s[46:47], v[78:79]
	v_add_f64_e32 v[74:75], v[74:75], v[82:83]
	v_add_f64_e32 v[98:99], v[16:17], v[98:99]
	;; [unrolled: 1-line block ×13, first 2 shown]
	v_mul_f64_e32 v[131:132], s[42:43], v[78:79]
	v_mul_f64_e32 v[133:134], s[52:53], v[78:79]
	;; [unrolled: 1-line block ×3, first 2 shown]
	v_fma_f64 v[157:158], v[70:71], s[18:19], v[159:160]
	v_fma_f64 v[159:160], v[70:71], s[18:19], -v[159:160]
	v_fma_f64 v[167:168], v[70:71], s[28:29], v[104:105]
	v_fma_f64 v[104:105], v[70:71], s[28:29], -v[104:105]
	;; [unrolled: 2-line block ×7, first 2 shown]
	v_add_f64_e32 v[94:95], v[165:166], v[94:95]
	v_add_f64_e32 v[20:21], v[76:77], v[20:21]
	;; [unrolled: 1-line block ×3, first 2 shown]
	v_mul_f64_e32 v[98:99], s[40:41], v[78:79]
	v_mul_f64_e32 v[78:79], s[44:45], v[78:79]
	v_add_f64_e32 v[84:85], v[179:180], v[92:93]
	v_add_f64_e32 v[92:93], v[163:164], v[100:101]
	;; [unrolled: 1-line block ×12, first 2 shown]
	v_fma_f64 v[125:126], v[68:69], s[20:21], v[96:97]
	v_fma_f64 v[96:97], v[68:69], s[20:21], -v[96:97]
	v_add_f64_e64 v[72:73], v[72:73], -v[131:132]
	v_fma_f64 v[129:130], v[68:69], s[16:17], v[133:134]
	v_fma_f64 v[131:132], v[68:69], s[16:17], -v[133:134]
	v_fma_f64 v[133:134], v[68:69], s[12:13], v[137:138]
	v_fma_f64 v[137:138], v[68:69], s[12:13], -v[137:138]
	v_fma_f64 v[147:148], v[68:69], s[10:11], -v[149:150]
	v_add_f64_e32 v[94:95], v[135:136], v[94:95]
	v_add_f64_e32 v[20:21], v[70:71], v[20:21]
	;; [unrolled: 1-line block ×3, first 2 shown]
	v_fma_f64 v[80:81], v[68:69], s[18:19], v[141:142]
	v_fma_f64 v[127:128], v[68:69], s[22:23], v[98:99]
	v_fma_f64 v[98:99], v[68:69], s[22:23], -v[98:99]
	v_fma_f64 v[141:142], v[68:69], s[10:11], v[149:150]
	v_fma_f64 v[149:150], v[68:69], s[4:5], v[78:79]
	v_fma_f64 v[68:69], v[68:69], s[4:5], -v[78:79]
	v_add_f64_e32 v[78:79], v[157:158], v[84:85]
	v_add_f64_e32 v[84:85], v[159:160], v[92:93]
	;; [unrolled: 1-line block ×29, first 2 shown]
	v_mad_u32_u24 v70, 0x88, v112, 0
	ds_store_2addr_b64 v70, v[96:97], v[94:95] offset0:4 offset1:5
	ds_store_2addr_b64 v70, v[88:89], v[82:83] offset0:6 offset1:7
	;; [unrolled: 1-line block ×7, first 2 shown]
	ds_store_2addr_b64 v70, v[68:69], v[72:73] offset1:1
	ds_store_b64 v70, v[113:114] offset:128
.LBB0_13:
	s_wait_alu 0xfffe
	s_or_b32 exec_lo, exec_lo, s1
	v_add_f64_e64 v[129:130], v[44:45], -v[0:1]
	v_add_f64_e32 v[119:120], v[46:47], v[2:3]
	v_add_f64_e64 v[127:128], v[48:49], -v[4:5]
	v_add_f64_e32 v[117:118], v[50:51], v[6:7]
	;; [unrolled: 2-line block ×6, first 2 shown]
	v_add_f64_e64 v[44:45], v[40:41], -v[28:29]
	v_add_f64_e64 v[16:17], v[36:37], -v[32:33]
	v_lshl_add_u32 v131, v112, 3, 0
	global_wb scope:SCOPE_SE
	s_wait_dscnt 0x0
	s_barrier_signal -1
	s_barrier_wait -1
	global_inv scope:SCOPE_SE
	v_add_nc_u32_e32 v137, 0x2400, v131
	v_add_nc_u32_e32 v136, 0x1c00, v131
	;; [unrolled: 1-line block ×7, first 2 shown]
	ds_load_2addr_b64 v[68:71], v131 offset1:119
	ds_load_2addr_b64 v[84:87], v136 offset0:56 offset1:175
	ds_load_2addr_b64 v[72:75], v133 offset0:110 offset1:229
	;; [unrolled: 1-line block ×7, first 2 shown]
	s_add_nc_u64 s[2:3], s[14:15], s[2:3]
	global_wb scope:SCOPE_SE
	s_wait_dscnt 0x0
	s_barrier_signal -1
	s_barrier_wait -1
	global_inv scope:SCOPE_SE
	v_mul_f64_e32 v[125:126], s[24:25], v[129:130]
	v_mul_f64_e32 v[121:122], s[26:27], v[127:128]
	;; [unrolled: 1-line block ×7, first 2 shown]
	v_fma_f64 v[0:1], v[119:120], s[4:5], -v[125:126]
	v_fma_f64 v[4:5], v[117:118], s[10:11], -v[121:122]
	v_fma_f64 v[8:9], v[102:103], s[12:13], -v[104:105]
	v_fma_f64 v[20:21], v[48:49], s[18:19], -v[52:53]
	v_fma_f64 v[28:29], v[24:25], s[20:21], -v[40:41]
	v_add_f64_e32 v[0:1], v[0:1], v[22:23]
	s_delay_alu instid0(VALU_DEP_1) | instskip(SKIP_1) | instid1(VALU_DEP_2)
	v_add_f64_e32 v[0:1], v[4:5], v[0:1]
	v_fma_f64 v[4:5], v[60:61], s[16:17], -v[64:65]
	v_add_f64_e32 v[0:1], v[8:9], v[0:1]
	v_add_f64_e32 v[8:9], v[30:31], v[42:43]
	s_delay_alu instid0(VALU_DEP_2) | instskip(SKIP_1) | instid1(VALU_DEP_3)
	v_add_f64_e32 v[0:1], v[4:5], v[0:1]
	v_mul_f64_e32 v[4:5], s[42:43], v[16:17]
	v_fma_f64 v[32:33], v[8:9], s[22:23], -v[12:13]
	s_delay_alu instid0(VALU_DEP_3) | instskip(SKIP_1) | instid1(VALU_DEP_2)
	v_add_f64_e32 v[20:21], v[20:21], v[0:1]
	v_add_f64_e32 v[0:1], v[34:35], v[38:39]
	;; [unrolled: 1-line block ×3, first 2 shown]
	s_delay_alu instid0(VALU_DEP_2) | instskip(NEXT) | instid1(VALU_DEP_2)
	v_fma_f64 v[28:29], v[0:1], s[28:29], -v[4:5]
	v_add_f64_e32 v[20:21], v[32:33], v[20:21]
	s_delay_alu instid0(VALU_DEP_1)
	v_add_f64_e32 v[115:116], v[28:29], v[20:21]
	s_and_saveexec_b32 s33, s0
	s_cbranch_execz .LBB0_15
; %bb.14:
	v_add_f64_e32 v[20:21], v[46:47], v[22:23]
	s_mov_b32 s34, 0x2a9d6da3
	s_mov_b32 s30, 0xeb564b22
	v_mul_f64_e32 v[32:33], s[20:21], v[24:25]
	s_mov_b32 s35, 0xbfe58eea
	s_mov_b32 s31, 0xbfefdd0d
	;; [unrolled: 1-line block ×7, first 2 shown]
	v_mul_f64_e32 v[46:47], s[4:5], v[119:120]
	s_mov_b32 s39, 0xbfc7851a
	s_wait_alu 0xfffe
	v_mul_f64_e32 v[139:140], s[30:31], v[129:130]
	v_mul_f64_e32 v[143:144], s[20:21], v[129:130]
	;; [unrolled: 1-line block ×3, first 2 shown]
	s_mov_b32 s46, 0x7c9e640b
	v_mul_f64_e32 v[147:148], s[38:39], v[129:130]
	s_mov_b32 s47, 0xbfeca52d
	s_mov_b32 s0, 0x75d4884
	;; [unrolled: 1-line block ×9, first 2 shown]
	v_mul_f64_e32 v[28:29], s[22:23], v[8:9]
	s_mov_b32 s15, 0xbfe348c8
	s_mov_b32 s22, 0x7faef3
	;; [unrolled: 1-line block ×3, first 2 shown]
	v_mul_f64_e32 v[149:150], s[20:21], v[127:128]
	v_mul_f64_e32 v[151:152], s[38:39], v[127:128]
	s_wait_alu 0xfffe
	v_mul_f64_e32 v[153:154], s[40:41], v[127:128]
	v_mul_f64_e32 v[157:158], s[52:53], v[127:128]
	s_mov_b32 s4, 0x2b2883cd
	s_mov_b32 s5, 0x3fdc86fa
	;; [unrolled: 1-line block ×3, first 2 shown]
	v_add_f64_e32 v[20:21], v[50:51], v[20:21]
	v_mul_f64_e32 v[50:51], s[10:11], v[117:118]
	s_mov_b32 s10, 0x3259b75e
	s_mov_b32 s11, 0x3fb79ee6
	;; [unrolled: 1-line block ×9, first 2 shown]
	v_add_f64_e32 v[46:47], v[46:47], v[125:126]
	v_mul_f64_e32 v[155:156], s[20:21], v[123:124]
	s_wait_alu 0xfffe
	v_fma_f64 v[163:164], v[119:120], s[10:11], v[139:140]
	v_fma_f64 v[139:140], v[119:120], s[10:11], -v[139:140]
	v_fma_f64 v[167:168], v[119:120], s[14:15], v[143:144]
	v_fma_f64 v[143:144], v[119:120], s[14:15], -v[143:144]
	;; [unrolled: 2-line block ×3, first 2 shown]
	v_mul_f64_e32 v[161:162], s[30:31], v[123:124]
	v_mul_f64_e32 v[177:178], s[54:55], v[123:124]
	;; [unrolled: 1-line block ×3, first 2 shown]
	s_mov_b32 s51, 0x3fe9895b
	s_mov_b32 s50, s20
	v_mul_f64_e32 v[175:176], s[40:41], v[106:107]
	s_wait_alu 0xfffe
	v_mul_f64_e32 v[197:198], s[50:51], v[106:107]
	s_mov_b32 s43, 0x3fefdd0d
	s_mov_b32 s42, s30
	v_add_f64_e32 v[32:33], v[32:33], v[40:41]
	v_add_f64_e32 v[12:13], v[28:29], v[12:13]
	v_fma_f64 v[183:184], v[117:118], s[14:15], v[149:150]
	v_fma_f64 v[149:150], v[117:118], s[14:15], -v[149:150]
	v_fma_f64 v[185:186], v[117:118], s[22:23], v[151:152]
	v_fma_f64 v[151:152], v[117:118], s[22:23], -v[151:152]
	;; [unrolled: 2-line block ×3, first 2 shown]
	v_add_f64_e32 v[20:21], v[62:63], v[20:21]
	v_mul_f64_e32 v[62:63], s[16:17], v[60:61]
	s_mov_b32 s16, 0x910ea3b9
	s_mov_b32 s17, 0xbfeb34fa
	v_add_f64_e32 v[50:51], v[50:51], v[121:122]
	s_wait_alu 0xfffe
	v_fma_f64 v[169:170], v[119:120], s[16:17], v[145:146]
	v_fma_f64 v[145:146], v[119:120], s[16:17], -v[145:146]
	v_fma_f64 v[189:190], v[117:118], s[16:17], v[157:158]
	v_fma_f64 v[157:158], v[117:118], s[16:17], -v[157:158]
	v_add_f64_e32 v[46:47], v[46:47], v[22:23]
	v_add_f64_e32 v[139:140], v[139:140], v[22:23]
	;; [unrolled: 1-line block ×4, first 2 shown]
	v_fma_f64 v[199:200], v[102:103], s[10:11], v[161:162]
	v_fma_f64 v[161:162], v[102:103], s[10:11], -v[161:162]
	v_fma_f64 v[203:204], v[102:103], s[22:23], v[177:178]
	v_fma_f64 v[177:178], v[102:103], s[22:23], -v[177:178]
	;; [unrolled: 2-line block ×3, first 2 shown]
	v_add_f64_e32 v[20:21], v[66:67], v[20:21]
	v_mul_f64_e32 v[66:67], s[18:19], v[48:49]
	s_mov_b32 s18, 0x923c349f
	s_mov_b32 s19, 0xbfeec746
	s_wait_alu 0xfffe
	s_mov_b32 s48, s18
	v_mul_f64_e32 v[141:142], s[18:19], v[129:130]
	s_wait_alu 0xfffe
	v_mul_f64_e32 v[159:160], s[48:49], v[127:128]
	v_mul_f64_e32 v[179:180], s[48:49], v[123:124]
	v_add_f64_e32 v[145:146], v[145:146], v[22:23]
	v_mul_f64_e32 v[195:196], s[48:49], v[106:107]
	v_add_f64_e32 v[62:63], v[62:63], v[64:65]
	v_add_f64_e32 v[46:47], v[50:51], v[46:47]
	;; [unrolled: 1-line block ×3, first 2 shown]
	v_mul_f64_e32 v[153:154], s[36:37], v[100:101]
	v_add_f64_e32 v[36:37], v[54:55], v[20:21]
	v_mul_f64_e32 v[54:55], s[12:13], v[102:103]
	s_mov_b32 s12, 0xc61f0d01
	v_mul_f64_e32 v[20:21], s[28:29], v[0:1]
	s_mov_b32 s13, 0xbfd183b1
	s_mov_b32 s29, 0x3feca52d
	;; [unrolled: 1-line block ×3, first 2 shown]
	s_wait_alu 0xfffe
	v_fma_f64 v[165:166], v[119:120], s[12:13], v[141:142]
	v_fma_f64 v[141:142], v[119:120], s[12:13], -v[141:142]
	v_fma_f64 v[191:192], v[117:118], s[12:13], v[159:160]
	v_fma_f64 v[159:160], v[117:118], s[12:13], -v[159:160]
	;; [unrolled: 2-line block ×3, first 2 shown]
	v_add_f64_e32 v[52:53], v[66:67], v[52:53]
	v_add_f64_e32 v[36:37], v[58:59], v[36:37]
	v_mul_f64_e32 v[58:59], s[34:35], v[129:130]
	v_mul_f64_e32 v[129:130], s[46:47], v[129:130]
	v_add_f64_e32 v[54:55], v[54:55], v[104:105]
	v_fma_f64 v[104:105], v[102:103], s[14:15], v[155:156]
	v_fma_f64 v[155:156], v[102:103], s[14:15], -v[155:156]
	v_add_f64_e32 v[4:5], v[20:21], v[4:5]
	v_add_f64_e32 v[141:142], v[141:142], v[22:23]
	;; [unrolled: 1-line block ×3, first 2 shown]
	v_mul_f64_e32 v[42:43], s[30:31], v[127:128]
	v_mul_f64_e32 v[127:128], s[28:29], v[127:128]
	v_fma_f64 v[125:126], v[119:120], s[0:1], v[58:59]
	v_fma_f64 v[58:59], v[119:120], s[0:1], -v[58:59]
	v_fma_f64 v[173:174], v[119:120], s[4:5], -v[129:130]
	v_add_f64_e32 v[46:47], v[54:55], v[46:47]
	v_add_f64_e32 v[141:142], v[157:158], v[141:142]
	v_mul_f64_e32 v[157:158], s[42:43], v[100:101]
	v_add_f64_e32 v[36:37], v[38:39], v[36:37]
	v_fma_f64 v[38:39], v[119:120], s[4:5], v[129:130]
	v_mul_f64_e32 v[119:120], s[24:25], v[123:124]
	v_mul_f64_e32 v[123:124], s[44:45], v[123:124]
	v_fma_f64 v[121:122], v[117:118], s[10:11], v[42:43]
	v_fma_f64 v[42:43], v[117:118], s[10:11], -v[42:43]
	v_fma_f64 v[193:194], v[117:118], s[4:5], v[127:128]
	v_fma_f64 v[117:118], v[117:118], s[4:5], -v[127:128]
	v_add_f64_e32 v[125:126], v[125:126], v[22:23]
	v_add_f64_e32 v[58:59], v[58:59], v[22:23]
	;; [unrolled: 1-line block ×8, first 2 shown]
	v_mul_f64_e32 v[129:130], s[38:39], v[106:107]
	v_mul_f64_e32 v[173:174], s[46:47], v[100:101]
	v_add_f64_e32 v[46:47], v[62:63], v[46:47]
	v_add_f64_e32 v[34:35], v[34:35], v[36:37]
	;; [unrolled: 1-line block ×3, first 2 shown]
	v_mul_f64_e32 v[36:37], s[46:47], v[106:107]
	v_fma_f64 v[201:202], v[102:103], s[16:17], v[119:120]
	v_fma_f64 v[119:120], v[102:103], s[16:17], -v[119:120]
	v_fma_f64 v[209:210], v[102:103], s[26:27], v[123:124]
	v_fma_f64 v[102:103], v[102:103], s[26:27], -v[123:124]
	v_mul_f64_e32 v[38:39], s[24:25], v[106:107]
	v_add_f64_e32 v[50:51], v[121:122], v[125:126]
	v_add_f64_e32 v[42:43], v[42:43], v[58:59]
	;; [unrolled: 1-line block ×4, first 2 shown]
	v_mul_f64_e32 v[106:107], s[36:37], v[106:107]
	v_add_f64_e32 v[121:122], v[151:152], v[139:140]
	v_add_f64_e32 v[125:126], v[191:192], v[165:166]
	;; [unrolled: 1-line block ×7, first 2 shown]
	v_mul_f64_e32 v[151:152], s[52:53], v[100:101]
	v_fma_f64 v[64:65], v[60:61], s[22:23], v[129:130]
	v_fma_f64 v[129:130], v[60:61], s[22:23], -v[129:130]
	v_fma_f64 v[159:160], v[60:61], s[26:27], v[175:176]
	v_mul_f64_e32 v[149:150], s[20:21], v[100:101]
	v_fma_f64 v[163:164], v[60:61], s[26:27], -v[175:176]
	v_fma_f64 v[169:170], v[60:61], s[12:13], v[195:196]
	v_fma_f64 v[171:172], v[60:61], s[12:13], -v[195:196]
	v_fma_f64 v[175:176], v[60:61], s[14:15], v[197:198]
	v_fma_f64 v[66:67], v[48:49], s[4:5], v[173:174]
	v_add_f64_e32 v[46:47], v[52:53], v[46:47]
	v_add_f64_e32 v[30:31], v[30:31], v[34:35]
	;; [unrolled: 1-line block ×3, first 2 shown]
	v_mul_f64_e32 v[34:35], s[38:39], v[100:101]
	v_fma_f64 v[165:166], v[60:61], s[4:5], v[36:37]
	v_mul_f64_e32 v[100:101], s[44:45], v[100:101]
	v_fma_f64 v[36:37], v[60:61], s[4:5], -v[36:37]
	v_fma_f64 v[183:184], v[60:61], s[14:15], -v[197:198]
	v_fma_f64 v[167:168], v[60:61], s[16:17], v[38:39]
	v_add_f64_e32 v[50:51], v[104:105], v[50:51]
	v_add_f64_e32 v[42:43], v[155:156], v[42:43]
	;; [unrolled: 1-line block ×4, first 2 shown]
	v_fma_f64 v[38:39], v[60:61], s[16:17], -v[38:39]
	v_fma_f64 v[185:186], v[60:61], s[0:1], v[106:107]
	v_fma_f64 v[60:61], v[60:61], s[0:1], -v[106:107]
	v_add_f64_e32 v[58:59], v[179:180], v[121:122]
	v_add_f64_e32 v[106:107], v[209:210], v[125:126]
	;; [unrolled: 1-line block ×9, first 2 shown]
	v_mul_f64_e32 v[139:140], s[34:35], v[56:57]
	v_mul_f64_e32 v[141:142], s[38:39], v[56:57]
	;; [unrolled: 1-line block ×5, first 2 shown]
	v_fma_f64 v[177:178], v[48:49], s[16:17], v[151:152]
	v_fma_f64 v[151:152], v[48:49], s[16:17], -v[151:152]
	v_fma_f64 v[155:156], v[48:49], s[4:5], -v[173:174]
	v_fma_f64 v[173:174], v[48:49], s[14:15], v[149:150]
	v_fma_f64 v[149:150], v[48:49], s[14:15], -v[149:150]
	v_fma_f64 v[179:180], v[48:49], s[0:1], v[153:154]
	;; [unrolled: 2-line block ×3, first 2 shown]
	v_fma_f64 v[157:158], v[48:49], s[10:11], -v[157:158]
	v_add_f64_e32 v[26:27], v[26:27], v[30:31]
	v_add_f64_e32 v[22:23], v[203:204], v[22:23]
	v_mul_f64_e32 v[30:31], s[24:25], v[56:57]
	v_mul_f64_e32 v[56:57], s[28:29], v[56:57]
	v_fma_f64 v[161:162], v[48:49], s[22:23], v[34:35]
	v_fma_f64 v[34:35], v[48:49], s[22:23], -v[34:35]
	v_fma_f64 v[187:188], v[48:49], s[26:27], v[100:101]
	v_fma_f64 v[48:49], v[48:49], s[26:27], -v[100:101]
	v_add_f64_e32 v[50:51], v[64:65], v[50:51]
	v_add_f64_e32 v[42:43], v[129:130], v[42:43]
	;; [unrolled: 1-line block ×14, first 2 shown]
	v_mul_f64_e32 v[117:118], s[38:39], v[44:45]
	v_mul_f64_e32 v[119:120], s[18:19], v[44:45]
	;; [unrolled: 1-line block ×5, first 2 shown]
	v_fma_f64 v[127:128], v[24:25], s[0:1], v[139:140]
	v_fma_f64 v[129:130], v[24:25], s[0:1], -v[139:140]
	v_fma_f64 v[139:140], v[24:25], s[22:23], v[141:142]
	v_fma_f64 v[141:142], v[24:25], s[22:23], -v[141:142]
	;; [unrolled: 2-line block ×4, first 2 shown]
	v_fma_f64 v[165:166], v[24:25], s[10:11], v[147:148]
	v_add_f64_e32 v[18:19], v[18:19], v[26:27]
	v_add_f64_e32 v[22:23], v[169:170], v[22:23]
	v_mul_f64_e32 v[26:27], s[30:31], v[44:45]
	v_mul_f64_e32 v[44:45], s[36:37], v[44:45]
	v_fma_f64 v[40:41], v[24:25], s[16:17], v[30:31]
	v_fma_f64 v[30:31], v[24:25], s[16:17], -v[30:31]
	v_fma_f64 v[147:148], v[24:25], s[10:11], -v[147:148]
	v_fma_f64 v[167:168], v[24:25], s[4:5], v[56:57]
	v_fma_f64 v[24:25], v[24:25], s[4:5], -v[56:57]
	v_add_f64_e32 v[50:51], v[177:178], v[50:51]
	v_add_f64_e32 v[42:43], v[151:152], v[42:43]
	;; [unrolled: 1-line block ×4, first 2 shown]
	v_mul_f64_e32 v[66:67], s[24:25], v[16:17]
	v_add_f64_e32 v[12:13], v[12:13], v[32:33]
	v_add_f64_e32 v[54:55], v[155:156], v[58:59]
	;; [unrolled: 1-line block ×10, first 2 shown]
	v_mul_f64_e32 v[100:101], s[20:21], v[16:17]
	v_mul_f64_e32 v[102:103], s[18:19], v[16:17]
	;; [unrolled: 1-line block ×4, first 2 shown]
	v_fma_f64 v[149:150], v[8:9], s[22:23], v[117:118]
	v_fma_f64 v[117:118], v[8:9], s[22:23], -v[117:118]
	v_fma_f64 v[151:152], v[8:9], s[12:13], v[119:120]
	v_fma_f64 v[119:120], v[8:9], s[12:13], -v[119:120]
	;; [unrolled: 2-line block ×5, first 2 shown]
	v_add_f64_e32 v[14:15], v[14:15], v[18:19]
	v_add_f64_e32 v[18:19], v[179:180], v[22:23]
	v_mul_f64_e32 v[22:23], s[40:41], v[16:17]
	v_mul_f64_e32 v[16:17], s[42:43], v[16:17]
	v_fma_f64 v[28:29], v[8:9], s[10:11], v[26:27]
	v_fma_f64 v[26:27], v[8:9], s[10:11], -v[26:27]
	v_fma_f64 v[161:162], v[8:9], s[0:1], v[44:45]
	v_fma_f64 v[8:9], v[8:9], s[0:1], -v[44:45]
	v_add_f64_e32 v[44:45], v[159:160], v[50:51]
	v_add_f64_e32 v[42:43], v[143:144], v[42:43]
	;; [unrolled: 1-line block ×4, first 2 shown]
	v_fma_f64 v[56:57], v[0:1], s[16:17], -v[66:67]
	v_add_f64_e32 v[4:5], v[4:5], v[12:13]
	v_add_f64_e32 v[30:31], v[30:31], v[54:55]
	;; [unrolled: 1-line block ×10, first 2 shown]
	v_fma_f64 v[58:59], v[0:1], s[14:15], v[100:101]
	v_fma_f64 v[60:61], v[0:1], s[14:15], -v[100:101]
	v_fma_f64 v[62:63], v[0:1], s[12:13], v[102:103]
	v_fma_f64 v[64:65], v[0:1], s[12:13], -v[102:103]
	v_fma_f64 v[100:101], v[0:1], s[0:1], -v[104:105]
	v_fma_f64 v[102:103], v[0:1], s[4:5], v[106:107]
	v_add_f64_e32 v[10:11], v[10:11], v[14:15]
	v_add_f64_e32 v[14:15], v[163:164], v[18:19]
	v_fma_f64 v[18:19], v[0:1], s[26:27], v[22:23]
	v_fma_f64 v[20:21], v[0:1], s[26:27], -v[22:23]
	v_fma_f64 v[22:23], v[0:1], s[16:17], v[66:67]
	v_fma_f64 v[66:67], v[0:1], s[0:1], v[104:105]
	v_fma_f64 v[104:105], v[0:1], s[4:5], -v[106:107]
	v_fma_f64 v[106:107], v[0:1], s[10:11], v[16:17]
	v_fma_f64 v[0:1], v[0:1], s[10:11], -v[16:17]
	v_add_f64_e32 v[16:17], v[153:154], v[44:45]
	v_add_f64_e32 v[32:33], v[121:122], v[42:43]
	;; [unrolled: 1-line block ×30, first 2 shown]
	v_lshl_add_u32 v10, v112, 7, v131
	ds_store_2addr_b64 v10, v[16:17], v[20:21] offset0:4 offset1:5
	ds_store_2addr_b64 v10, v[28:29], v[32:33] offset0:6 offset1:7
	;; [unrolled: 1-line block ×6, first 2 shown]
	ds_store_2addr_b64 v10, v[2:3], v[4:5] offset1:1
	ds_store_2addr_b64 v10, v[12:13], v[6:7] offset0:2 offset1:3
	ds_store_b64 v10, v[115:116] offset:128
.LBB0_15:
	s_or_b32 exec_lo, exec_lo, s33
	v_add_nc_u16 v140, v112, 0x77
	v_and_b32_e32 v0, 0xff, v112
	v_add_nc_u32_e32 v130, 0xee, v112
	v_add_nc_u32_e32 v129, 0x165, v112
	;; [unrolled: 1-line block ×3, first 2 shown]
	v_and_b32_e32 v141, 0xff, v140
	v_add_nc_u32_e32 v122, 0x253, v112
	v_mul_lo_u16 v52, 0xf1, v0
	v_add_nc_u32_e32 v124, 0x2ca, v112
	v_add_nc_u32_e32 v125, 0x341, v112
	v_and_b32_e32 v1, 0xffff, v130
	v_mul_lo_u16 v123, 0xf1, v141
	v_and_b32_e32 v3, 0xffff, v129
	v_and_b32_e32 v8, 0xffff, v121
	;; [unrolled: 1-line block ×3, first 2 shown]
	v_lshrrev_b16 v126, 12, v52
	v_and_b32_e32 v10, 0xffff, v124
	v_and_b32_e32 v11, 0xffff, v125
	v_mul_u32_u24_e32 v139, 0xf0f1, v1
	v_lshrrev_b16 v127, 12, v123
	v_mul_u32_u24_e32 v145, 0xf0f1, v3
	v_mul_u32_u24_e32 v146, 0xf0f1, v8
	;; [unrolled: 1-line block ×3, first 2 shown]
	v_mul_lo_u16 v0, v126, 17
	v_mul_u32_u24_e32 v148, 0xf0f1, v10
	v_mul_u32_u24_e32 v149, 0xf0f1, v11
	v_lshrrev_b32_e32 v128, 20, v139
	v_mul_lo_u16 v1, v127, 17
	v_lshrrev_b32_e32 v150, 20, v145
	v_lshrrev_b32_e32 v151, 20, v146
	v_lshrrev_b32_e32 v152, 20, v147
	v_sub_nc_u16 v0, v112, v0
	v_lshrrev_b32_e32 v153, 20, v148
	v_lshrrev_b32_e32 v154, 20, v149
	v_mul_lo_u16 v2, v128, 17
	v_sub_nc_u16 v1, v140, v1
	v_mul_lo_u16 v8, v150, 17
	v_mul_lo_u16 v9, v151, 17
	v_mul_lo_u16 v10, v152, 17
	v_and_b32_e32 v142, 0xff, v0
	v_mul_lo_u16 v11, v153, 17
	v_mul_lo_u16 v13, v154, 17
	v_sub_nc_u16 v2, v130, v2
	v_and_b32_e32 v143, 0xff, v1
	v_sub_nc_u16 v8, v129, v8
	v_sub_nc_u16 v9, v121, v9
	;; [unrolled: 1-line block ×3, first 2 shown]
	v_lshlrev_b32_e32 v0, 4, v142
	v_sub_nc_u16 v11, v124, v11
	v_sub_nc_u16 v13, v125, v13
	v_and_b32_e32 v144, 0xffff, v2
	v_lshlrev_b32_e32 v4, 4, v143
	v_and_b32_e32 v155, 0xffff, v8
	v_and_b32_e32 v156, 0xffff, v9
	;; [unrolled: 1-line block ×3, first 2 shown]
	s_load_b64 s[2:3], s[2:3], 0x0
	global_wb scope:SCOPE_SE
	s_wait_dscnt 0x0
	s_wait_kmcnt 0x0
	s_barrier_signal -1
	s_barrier_wait -1
	global_inv scope:SCOPE_SE
	s_clause 0x1
	global_load_b128 v[0:3], v0, s[8:9]
	global_load_b128 v[4:7], v4, s[8:9]
	v_and_b32_e32 v158, 0xffff, v11
	v_and_b32_e32 v159, 0xffff, v13
	v_lshlrev_b32_e32 v12, 4, v144
	v_lshlrev_b32_e32 v13, 4, v155
	;; [unrolled: 1-line block ×6, first 2 shown]
	s_clause 0x5
	global_load_b128 v[8:11], v12, s[8:9]
	global_load_b128 v[12:15], v13, s[8:9]
	;; [unrolled: 1-line block ×6, first 2 shown]
	ds_load_2addr_b64 v[32:35], v136 offset0:56 offset1:175
	ds_load_2addr_b64 v[36:39], v137 offset0:38 offset1:157
	;; [unrolled: 1-line block ×4, first 2 shown]
	ds_load_2addr_b64 v[48:51], v131 offset1:119
	v_lshrrev_b16 v160, 13, v52
	ds_load_2addr_b64 v[52:55], v133 offset0:110 offset1:229
	ds_load_2addr_b64 v[56:59], v134 offset0:92 offset1:211
	;; [unrolled: 1-line block ×3, first 2 shown]
	v_lshrrev_b16 v123, 13, v123
	v_and_b32_e32 v126, 0xffff, v126
	global_wb scope:SCOPE_SE
	s_wait_loadcnt_dscnt 0x0
	v_mul_lo_u16 v161, v160, 34
	s_barrier_signal -1
	s_barrier_wait -1
	global_inv scope:SCOPE_SE
	v_cmp_gt_u32_e64 s0, 34, v112
	v_mul_f64_e32 v[64:65], v[32:33], v[2:3]
	v_mul_f64_e32 v[2:3], v[84:85], v[2:3]
	;; [unrolled: 1-line block ×16, first 2 shown]
	v_fma_f64 v[64:65], v[84:85], v[0:1], -v[64:65]
	v_fma_f64 v[0:1], v[32:33], v[0:1], v[2:3]
	v_fma_f64 v[66:67], v[86:87], v[4:5], -v[66:67]
	v_fma_f64 v[2:3], v[34:35], v[4:5], v[6:7]
	;; [unrolled: 2-line block ×8, first 2 shown]
	v_lshrrev_b32_e32 v96, 21, v139
	v_lshrrev_b32_e32 v97, 21, v145
	v_lshrrev_b32_e32 v98, 21, v146
	v_lshrrev_b32_e32 v99, 21, v147
	v_lshrrev_b32_e32 v100, 21, v148
	v_lshrrev_b32_e32 v101, 21, v149
	v_mul_lo_u16 v120, v123, 34
	v_mul_lo_u16 v32, v96, 34
	;; [unrolled: 1-line block ×7, first 2 shown]
	v_and_b32_e32 v103, 0xffff, v127
	v_sub_nc_u16 v119, v112, v161
	v_sub_nc_u16 v39, v140, v120
	v_sub_nc_u16 v32, v130, v32
	v_sub_nc_u16 v33, v129, v33
	v_sub_nc_u16 v34, v121, v34
	v_sub_nc_u16 v35, v122, v35
	v_sub_nc_u16 v36, v124, v36
	v_add_f64_e64 v[16:17], v[68:69], -v[64:65]
	v_add_f64_e64 v[44:45], v[48:49], -v[0:1]
	;; [unrolled: 1-line block ×4, first 2 shown]
	v_sub_nc_u16 v37, v125, v37
	v_add_f64_e64 v[20:21], v[72:73], -v[84:85]
	v_add_f64_e64 v[64:65], v[52:53], -v[4:5]
	;; [unrolled: 1-line block ×12, first 2 shown]
	v_mul_u32_u24_e32 v102, 0x110, v126
	v_mul_u32_u24_e32 v38, 0x110, v103
	v_and_b32_e32 v103, 0xff, v119
	v_lshlrev_b32_e32 v40, 3, v142
	v_and_b32_e32 v124, 0xff, v39
	v_and_b32_e32 v125, 0xffff, v32
	v_lshlrev_b32_e32 v32, 3, v143
	v_mul_u32_u24_e32 v104, 0x110, v128
	v_and_b32_e32 v126, 0xffff, v33
	v_lshlrev_b32_e32 v33, 3, v144
	v_mul_u32_u24_e32 v105, 0x110, v150
	;; [unrolled: 3-line block ×3, first 2 shown]
	v_and_b32_e32 v128, 0xffff, v35
	v_and_b32_e32 v145, 0xffff, v36
	;; [unrolled: 1-line block ×3, first 2 shown]
	v_lshlrev_b32_e32 v35, 3, v156
	v_mul_u32_u24_e32 v107, 0x110, v152
	v_mul_u32_u24_e32 v117, 0x110, v153
	;; [unrolled: 1-line block ×3, first 2 shown]
	v_fma_f64 v[0:1], v[68:69], 2.0, -v[16:17]
	v_fma_f64 v[48:49], v[48:49], 2.0, -v[44:45]
	;; [unrolled: 1-line block ×4, first 2 shown]
	v_lshlrev_b32_e32 v92, 4, v103
	v_fma_f64 v[4:5], v[72:73], 2.0, -v[20:21]
	v_fma_f64 v[52:53], v[52:53], 2.0, -v[64:65]
	;; [unrolled: 1-line block ×12, first 2 shown]
	v_add3_u32 v93, 0, v102, v40
	v_lshlrev_b32_e32 v36, 3, v157
	v_lshlrev_b32_e32 v37, 3, v158
	;; [unrolled: 1-line block ×4, first 2 shown]
	v_add3_u32 v75, 0, v38, v32
	v_lshlrev_b32_e32 v69, 4, v125
	v_add3_u32 v76, 0, v104, v33
	v_lshlrev_b32_e32 v70, 4, v126
	;; [unrolled: 2-line block ×3, first 2 shown]
	v_lshlrev_b32_e32 v72, 4, v128
	v_lshlrev_b32_e32 v73, 4, v145
	;; [unrolled: 1-line block ×3, first 2 shown]
	v_add3_u32 v78, 0, v106, v35
	v_add3_u32 v79, 0, v107, v36
	;; [unrolled: 1-line block ×4, first 2 shown]
	ds_store_2addr_b64 v93, v[0:1], v[16:17] offset1:17
	ds_store_2addr_b64 v75, v[2:3], v[18:19] offset1:17
	;; [unrolled: 1-line block ×8, first 2 shown]
	global_wb scope:SCOPE_SE
	s_wait_dscnt 0x0
	s_barrier_signal -1
	s_barrier_wait -1
	global_inv scope:SCOPE_SE
	ds_load_2addr_b64 v[4:7], v131 offset1:119
	ds_load_2addr_b64 v[40:43], v136 offset0:56 offset1:175
	ds_load_2addr_b64 v[8:11], v133 offset0:110 offset1:229
	;; [unrolled: 1-line block ×7, first 2 shown]
	global_wb scope:SCOPE_SE
	s_wait_dscnt 0x0
	s_barrier_signal -1
	s_barrier_wait -1
	global_inv scope:SCOPE_SE
	ds_store_2addr_b64 v93, v[48:49], v[44:45] offset1:17
	ds_store_2addr_b64 v75, v[50:51], v[46:47] offset1:17
	ds_store_2addr_b64 v76, v[52:53], v[64:65] offset1:17
	ds_store_2addr_b64 v77, v[54:55], v[66:67] offset1:17
	ds_store_2addr_b64 v78, v[56:57], v[84:85] offset1:17
	ds_store_2addr_b64 v79, v[58:59], v[86:87] offset1:17
	ds_store_2addr_b64 v80, v[60:61], v[88:89] offset1:17
	ds_store_2addr_b64 v81, v[62:63], v[90:91] offset1:17
	global_wb scope:SCOPE_SE
	s_wait_dscnt 0x0
	s_barrier_signal -1
	s_barrier_wait -1
	global_inv scope:SCOPE_SE
	s_clause 0x7
	global_load_b128 v[44:47], v92, s[8:9] offset:272
	global_load_b128 v[48:51], v68, s[8:9] offset:272
	global_load_b128 v[52:55], v69, s[8:9] offset:272
	global_load_b128 v[56:59], v70, s[8:9] offset:272
	global_load_b128 v[60:63], v71, s[8:9] offset:272
	global_load_b128 v[64:67], v72, s[8:9] offset:272
	global_load_b128 v[68:71], v73, s[8:9] offset:272
	global_load_b128 v[72:75], v74, s[8:9] offset:272
	ds_load_2addr_b64 v[88:91], v136 offset0:56 offset1:175
	ds_load_2addr_b64 v[84:87], v137 offset0:38 offset1:157
	;; [unrolled: 1-line block ×4, first 2 shown]
	v_lshlrev_b32_e32 v102, 3, v145
	v_add_nc_u32_e32 v136, 0x800, v131
	v_add_nc_u32_e32 v137, 0x1000, v131
	;; [unrolled: 1-line block ×5, first 2 shown]
	s_wait_loadcnt_dscnt 0x703
	v_mul_f64_e32 v[20:21], v[88:89], v[46:47]
	s_wait_loadcnt 0x6
	v_mul_f64_e32 v[22:23], v[90:91], v[50:51]
	s_wait_loadcnt_dscnt 0x502
	v_mul_f64_e32 v[24:25], v[84:85], v[54:55]
	s_wait_loadcnt 0x4
	v_mul_f64_e32 v[26:27], v[86:87], v[58:59]
	;; [unrolled: 4-line block ×4, first 2 shown]
	v_fma_f64 v[20:21], v[40:41], v[44:45], -v[20:21]
	v_fma_f64 v[22:23], v[42:43], v[48:49], -v[22:23]
	v_fma_f64 v[24:25], v[36:37], v[52:53], -v[24:25]
	v_fma_f64 v[26:27], v[38:39], v[56:57], -v[26:27]
	v_fma_f64 v[28:29], v[32:33], v[60:61], -v[28:29]
	v_fma_f64 v[30:31], v[34:35], v[64:65], -v[30:31]
	v_fma_f64 v[92:93], v[0:1], v[68:69], -v[92:93]
	v_fma_f64 v[94:95], v[2:3], v[72:73], -v[94:95]
	v_add_f64_e64 v[20:21], v[4:5], -v[20:21]
	v_add_f64_e64 v[22:23], v[6:7], -v[22:23]
	;; [unrolled: 1-line block ×8, first 2 shown]
	v_and_b32_e32 v92, 0xffff, v160
	v_and_b32_e32 v93, 0xffff, v123
	v_lshlrev_b32_e32 v95, 3, v103
	v_mul_u32_u24_e32 v94, 0x220, v96
	v_mul_u32_u24_e32 v96, 0x220, v99
	v_mul_u32_u24_e32 v92, 0x220, v92
	v_mul_u32_u24_e32 v93, 0x220, v93
	v_lshlrev_b32_e32 v99, 3, v126
	v_lshlrev_b32_e32 v103, 3, v146
	s_delay_alu instid0(VALU_DEP_4) | instskip(SKIP_2) | instid1(VALU_DEP_2)
	v_add3_u32 v144, 0, v92, v95
	v_lshlrev_b32_e32 v92, 3, v124
	v_lshlrev_b32_e32 v95, 3, v125
                                        ; implicit-def: $vgpr123_vgpr124
                                        ; implicit-def: $vgpr125_vgpr126
	v_add3_u32 v145, 0, v93, v92
	s_delay_alu instid0(VALU_DEP_2)
	v_add3_u32 v146, 0, v94, v95
	v_fma_f64 v[4:5], v[4:5], 2.0, -v[20:21]
	v_fma_f64 v[6:7], v[6:7], 2.0, -v[22:23]
	;; [unrolled: 1-line block ×8, first 2 shown]
	v_mul_u32_u24_e32 v18, 0x220, v97
	v_mul_u32_u24_e32 v19, 0x220, v98
	;; [unrolled: 1-line block ×3, first 2 shown]
	v_lshlrev_b32_e32 v100, 3, v127
	v_mul_u32_u24_e32 v98, 0x220, v101
	v_lshlrev_b32_e32 v101, 3, v128
	v_add3_u32 v147, 0, v18, v99
	v_add3_u32 v150, 0, v97, v102
	;; [unrolled: 1-line block ×5, first 2 shown]
	ds_load_2addr_b64 v[104:107], v131 offset1:119
	ds_load_2addr_b64 v[100:103], v133 offset0:110 offset1:229
	ds_load_2addr_b64 v[96:99], v134 offset0:92 offset1:211
	;; [unrolled: 1-line block ×3, first 2 shown]
	global_wb scope:SCOPE_SE
	s_wait_dscnt 0x0
	s_barrier_signal -1
	s_barrier_wait -1
	global_inv scope:SCOPE_SE
	ds_store_2addr_b64 v144, v[4:5], v[20:21] offset1:34
	ds_store_2addr_b64 v145, v[6:7], v[22:23] offset1:34
	;; [unrolled: 1-line block ×8, first 2 shown]
	global_wb scope:SCOPE_SE
	s_wait_dscnt 0x0
	s_barrier_signal -1
	s_barrier_wait -1
	global_inv scope:SCOPE_SE
	ds_load_2addr_b64 v[4:7], v131 offset1:119
	ds_load_2addr_b64 v[16:19], v136 offset0:16 offset1:135
	ds_load_2addr_b64 v[20:23], v137 offset0:32 offset1:151
	;; [unrolled: 1-line block ×6, first 2 shown]
                                        ; implicit-def: $vgpr121_vgpr122
                                        ; implicit-def: $vgpr127_vgpr128
	s_and_saveexec_b32 s1, s0
	s_cbranch_execz .LBB0_17
; %bb.16:
	ds_load_b64 v[117:118], v131 offset:1904
	ds_load_b64 v[119:120], v131 offset:4080
	;; [unrolled: 1-line block ×7, first 2 shown]
.LBB0_17:
	s_wait_alu 0xfffe
	s_or_b32 exec_lo, exec_lo, s1
	v_mul_f64_e32 v[40:41], v[40:41], v[46:47]
	v_mul_f64_e32 v[42:43], v[42:43], v[50:51]
	;; [unrolled: 1-line block ×8, first 2 shown]
	global_wb scope:SCOPE_SE
	s_wait_dscnt 0x0
	s_barrier_signal -1
	s_barrier_wait -1
	global_inv scope:SCOPE_SE
                                        ; implicit-def: $vgpr62_vgpr63
                                        ; implicit-def: $vgpr66_vgpr67
	v_fma_f64 v[40:41], v[88:89], v[44:45], v[40:41]
	v_fma_f64 v[42:43], v[90:91], v[48:49], v[42:43]
	;; [unrolled: 1-line block ×8, first 2 shown]
	v_add_nc_u32_e32 v60, 0x3000, v131
                                        ; implicit-def: $vgpr64_vgpr65
	v_add_f64_e64 v[40:41], v[104:105], -v[40:41]
	v_add_f64_e64 v[42:43], v[106:107], -v[42:43]
	;; [unrolled: 1-line block ×8, first 2 shown]
	v_fma_f64 v[2:3], v[104:105], 2.0, -v[40:41]
	v_fma_f64 v[44:45], v[106:107], 2.0, -v[42:43]
	;; [unrolled: 1-line block ×8, first 2 shown]
	ds_store_2addr_b64 v144, v[2:3], v[40:41] offset1:34
	ds_store_2addr_b64 v145, v[44:45], v[42:43] offset1:34
	;; [unrolled: 1-line block ×8, first 2 shown]
	global_wb scope:SCOPE_SE
	s_wait_dscnt 0x0
	s_barrier_signal -1
	s_barrier_wait -1
	global_inv scope:SCOPE_SE
	ds_load_2addr_b64 v[0:3], v131 offset1:119
	ds_load_2addr_b64 v[48:51], v136 offset0:16 offset1:135
	ds_load_2addr_b64 v[52:55], v137 offset0:32 offset1:151
	;; [unrolled: 1-line block ×6, first 2 shown]
                                        ; implicit-def: $vgpr60_vgpr61
	s_and_saveexec_b32 s1, s0
	s_cbranch_execz .LBB0_19
; %bb.18:
	ds_load_b64 v[56:57], v131 offset:1904
	ds_load_b64 v[58:59], v131 offset:4080
	ds_load_b64 v[115:116], v131 offset:6256
	ds_load_b64 v[66:67], v131 offset:8432
	ds_load_b64 v[64:65], v131 offset:10608
	ds_load_b64 v[62:63], v131 offset:12784
	ds_load_b64 v[60:61], v131 offset:14960
.LBB0_19:
	s_wait_alu 0xfffe
	s_or_b32 exec_lo, exec_lo, s1
	v_mul_lo_u16 v68, 0x79, v141
	v_add_nc_u32_e32 v69, 0xffffffbc, v112
	v_cmp_gt_u32_e64 s1, 0x44, v112
	s_mov_b32 s14, 0x37e14327
	s_mov_b32 s10, 0x36b3c0b5
	v_lshrrev_b16 v188, 13, v68
	s_mov_b32 s16, 0xe976ee23
	s_wait_alu 0xf1ff
	v_cndmask_b32_e64 v189, v69, v112, s1
	s_mov_b32 s15, 0x3fe948f6
	s_mov_b32 s11, 0x3fac98ee
	v_mul_lo_u16 v70, 0x44, v188
	s_mov_b32 s17, 0xbfe11646
	v_mul_i32_i24_e32 v68, 6, v189
	s_mov_b32 s4, 0x429ad128
	s_mov_b32 s5, 0x3febfeb5
	v_sub_nc_u16 v70, v140, v70
	v_mov_b32_e32 v69, 0
	s_mov_b32 s18, 0xaaaaaaaa
	s_mov_b32 s12, 0x5476071b
	;; [unrolled: 1-line block ×3, first 2 shown]
	v_and_b32_e32 v190, 0xff, v70
	v_lshlrev_b64_e32 v[68:69], 4, v[68:69]
	s_mov_b32 s19, 0xbff2aaaa
	s_mov_b32 s13, 0x3fe77f67
	;; [unrolled: 1-line block ×3, first 2 shown]
	v_mul_u32_u24_e32 v70, 6, v190
	s_mov_b32 s21, 0xbfe77f67
	v_add_co_u32 v68, s1, s8, v68
	s_wait_alu 0xf1ff
	v_add_co_ci_u32_e64 v69, s1, s9, v69, s1
	v_lshlrev_b32_e32 v70, 4, v70
	s_mov_b32 s23, 0xbfd5d0dc
	s_clause 0xb
	global_load_b128 v[72:75], v[68:69], off offset:832
	global_load_b128 v[76:79], v[68:69], off offset:816
	;; [unrolled: 1-line block ×4, first 2 shown]
	global_load_b128 v[88:91], v70, s[8:9] offset:816
	global_load_b128 v[92:95], v70, s[8:9] offset:832
	;; [unrolled: 1-line block ×4, first 2 shown]
	global_load_b128 v[104:107], v[68:69], off offset:848
	global_load_b128 v[132:135], v[68:69], off offset:864
	global_load_b128 v[140:143], v70, s[8:9] offset:848
	global_load_b128 v[144:147], v70, s[8:9] offset:864
	v_lshrrev_b32_e32 v68, 22, v139
	s_wait_alu 0xfffe
	s_mov_b32 s20, s12
	s_mov_b32 s22, s24
	;; [unrolled: 1-line block ×4, first 2 shown]
	v_mul_lo_u16 v68, 0x44, v68
	v_cmp_lt_u32_e64 s1, 0x43, v112
	s_delay_alu instid0(VALU_DEP_2) | instskip(NEXT) | instid1(VALU_DEP_1)
	v_sub_nc_u16 v68, v130, v68
	v_and_b32_e32 v191, 0xffff, v68
	s_delay_alu instid0(VALU_DEP_1) | instskip(NEXT) | instid1(VALU_DEP_1)
	v_mul_u32_u24_e32 v68, 6, v191
	v_lshlrev_b32_e32 v68, 4, v68
	s_clause 0x5
	global_load_b128 v[136:139], v68, s[8:9] offset:816
	global_load_b128 v[148:151], v68, s[8:9] offset:832
	;; [unrolled: 1-line block ×6, first 2 shown]
	global_wb scope:SCOPE_SE
	s_wait_loadcnt_dscnt 0x0
	s_barrier_signal -1
	s_barrier_wait -1
	global_inv scope:SCOPE_SE
	v_mul_f64_e32 v[168:169], v[36:37], v[82:83]
	v_mul_f64_e32 v[170:171], v[40:41], v[86:87]
	;; [unrolled: 1-line block ×24, first 2 shown]
	v_fma_f64 v[24:25], v[24:25], v[84:85], -v[170:171]
	v_fma_f64 v[18:19], v[18:19], v[88:89], -v[172:173]
	;; [unrolled: 1-line block ×9, first 2 shown]
	v_fma_f64 v[70:71], v[48:49], v[76:77], v[78:79]
	v_fma_f64 v[48:49], v[52:53], v[72:73], v[74:75]
	;; [unrolled: 1-line block ×3, first 2 shown]
	v_fma_f64 v[8:9], v[8:9], v[132:133], -v[182:183]
	v_fma_f64 v[32:33], v[32:33], v[132:133], v[134:135]
	v_fma_f64 v[52:53], v[40:41], v[84:85], v[86:87]
	;; [unrolled: 1-line block ×6, first 2 shown]
	v_fma_f64 v[14:15], v[14:15], v[140:141], -v[184:185]
	v_fma_f64 v[42:43], v[42:43], v[100:101], v[102:103]
	v_fma_f64 v[10:11], v[10:11], v[144:145], -v[186:187]
	v_fma_f64 v[34:35], v[34:35], v[144:145], v[146:147]
	v_fma_f64 v[38:39], v[38:39], v[96:97], v[98:99]
	v_mul_f64_e32 v[140:141], v[125:126], v[158:159]
	v_mul_f64_e32 v[142:143], v[62:63], v[162:163]
	;; [unrolled: 1-line block ×4, first 2 shown]
	v_add_f64_e32 v[50:51], v[68:69], v[24:25]
	v_add_f64_e32 v[46:47], v[16:17], v[20:21]
	;; [unrolled: 1-line block ×5, first 2 shown]
	v_add_f64_e64 v[80:81], v[32:33], -v[30:31]
	v_add_f64_e64 v[78:79], v[48:49], -v[52:53]
	v_add_f64_e64 v[82:83], v[70:71], -v[72:73]
	v_add_f64_e64 v[86:87], v[40:41], -v[42:43]
	v_add_f64_e32 v[88:89], v[14:15], v[10:11]
	v_add_f64_e64 v[90:91], v[34:35], -v[36:37]
	v_add_f64_e64 v[92:93], v[44:45], -v[38:39]
	v_add_f64_e32 v[84:85], v[50:51], v[46:47]
	v_add_f64_e32 v[94:95], v[74:75], v[54:55]
	v_add_f64_e64 v[96:97], v[46:47], -v[76:77]
	v_add_f64_e64 v[98:99], v[76:77], -v[50:51]
	;; [unrolled: 1-line block ×5, first 2 shown]
	v_add_f64_e32 v[50:51], v[80:81], v[78:79]
	v_add_f64_e64 v[78:79], v[82:83], -v[80:81]
	v_add_f64_e64 v[104:105], v[90:91], -v[86:87]
	;; [unrolled: 1-line block ×3, first 2 shown]
	v_add_f64_e32 v[80:81], v[90:91], v[86:87]
	v_add_f64_e64 v[90:91], v[92:93], -v[90:91]
	v_add_f64_e32 v[76:77], v[76:77], v[84:85]
	v_add_f64_e64 v[84:85], v[54:55], -v[88:89]
	;; [unrolled: 2-line block ×3, first 2 shown]
	v_add_f64_e64 v[54:55], v[74:75], -v[54:55]
	v_mul_f64_e32 v[86:87], s[14:15], v[96:97]
	v_mul_f64_e32 v[96:97], s[10:11], v[98:99]
	;; [unrolled: 1-line block ×4, first 2 shown]
	v_add_f64_e32 v[50:51], v[50:51], v[82:83]
	v_mul_f64_e32 v[104:105], s[16:17], v[104:105]
	v_mul_f64_e32 v[134:135], s[4:5], v[106:107]
	v_add_f64_e32 v[80:81], v[80:81], v[92:93]
	v_add_f64_e32 v[4:5], v[4:5], v[76:77]
	v_mul_f64_e32 v[84:85], s[14:15], v[84:85]
	v_add_f64_e32 v[6:7], v[6:7], v[94:95]
	v_mul_f64_e32 v[74:75], s[10:11], v[88:89]
	v_fma_f64 v[82:83], v[98:99], s[10:11], v[86:87]
	v_fma_f64 v[92:93], v[46:47], s[12:13], -v[96:97]
	v_fma_f64 v[96:97], v[78:79], s[24:25], v[100:101]
	v_fma_f64 v[98:99], v[102:103], s[4:5], -v[100:101]
	s_wait_alu 0xfffe
	v_fma_f64 v[78:79], v[78:79], s[22:23], -v[132:133]
	v_fma_f64 v[46:47], v[46:47], s[20:21], -v[86:87]
	v_mul_f64_e32 v[102:103], v[119:120], v[138:139]
	v_mul_f64_e32 v[132:133], v[66:67], v[154:155]
	v_fma_f64 v[100:101], v[106:107], s[4:5], -v[104:105]
	v_mul_f64_e32 v[106:107], v[113:114], v[150:151]
	v_fma_f64 v[76:77], v[76:77], s[18:19], v[4:5]
	v_fma_f64 v[86:87], v[88:89], s[10:11], v[84:85]
	;; [unrolled: 1-line block ×4, first 2 shown]
	v_fma_f64 v[90:91], v[90:91], s[22:23], -v[134:135]
	v_fma_f64 v[84:85], v[54:55], s[20:21], -v[84:85]
	;; [unrolled: 1-line block ×3, first 2 shown]
	v_mul_f64_e32 v[74:75], v[58:59], v[138:139]
	v_mul_f64_e32 v[104:105], v[115:116], v[150:151]
	;; [unrolled: 1-line block ×4, first 2 shown]
	v_fma_f64 v[96:97], v[50:51], s[26:27], v[96:97]
	v_mul_f64_e32 v[158:159], v[121:122], v[166:167]
	v_fma_f64 v[98:99], v[50:51], s[26:27], v[98:99]
	v_fma_f64 v[150:151], v[50:51], s[26:27], v[78:79]
	;; [unrolled: 1-line block ×4, first 2 shown]
	v_fma_f64 v[78:79], v[123:124], v[160:161], -v[142:143]
	v_add_f64_e32 v[82:83], v[82:83], v[76:77]
	v_add_f64_e32 v[154:155], v[46:47], v[76:77]
	;; [unrolled: 1-line block ×3, first 2 shown]
	v_fma_f64 v[88:89], v[80:81], s[26:27], v[88:89]
	v_add_f64_e32 v[86:87], v[86:87], v[94:95]
	v_fma_f64 v[90:91], v[80:81], s[26:27], v[90:91]
	v_add_f64_e32 v[84:85], v[84:85], v[94:95]
	v_add_f64_e32 v[94:95], v[54:55], v[94:95]
	v_fma_f64 v[46:47], v[119:120], v[136:137], -v[74:75]
	v_fma_f64 v[74:75], v[58:59], v[136:137], v[102:103]
	v_fma_f64 v[50:51], v[113:114], v[148:149], -v[104:105]
	v_fma_f64 v[76:77], v[115:116], v[148:149], v[106:107]
	;; [unrolled: 2-line block ×5, first 2 shown]
	v_add_f64_e32 v[102:103], v[96:97], v[82:83]
	v_add_f64_e32 v[104:105], v[150:151], v[154:155]
	v_add_f64_e64 v[106:107], v[92:93], -v[98:99]
	v_add_f64_e32 v[92:93], v[98:99], v[92:93]
	v_add_f64_e64 v[98:99], v[154:155], -v[150:151]
	v_add_f64_e64 v[96:97], v[82:83], -v[96:97]
	v_add_f64_e32 v[113:114], v[88:89], v[86:87]
	v_add_f64_e32 v[115:116], v[90:91], v[84:85]
	v_add_f64_e64 v[119:120], v[94:95], -v[100:101]
	v_add_f64_e32 v[94:95], v[100:101], v[94:95]
	v_add_f64_e64 v[90:91], v[84:85], -v[90:91]
	v_add_f64_e64 v[87:88], v[86:87], -v[88:89]
	v_and_b32_e32 v84, 0xffff, v188
	s_wait_alu 0xf1ff
	v_cndmask_b32_e64 v82, 0, 0xee0, s1
	v_lshlrev_b32_e32 v83, 3, v189
	v_lshlrev_b32_e32 v86, 3, v190
	v_mul_u32_u24_e32 v85, 0xee0, v84
	s_delay_alu instid0(VALU_DEP_3) | instskip(SKIP_1) | instid1(VALU_DEP_3)
	v_add3_u32 v83, 0, v82, v83
	v_lshl_add_u32 v82, v191, 3, 0
	v_add3_u32 v85, 0, v85, v86
	s_delay_alu instid0(VALU_DEP_3) | instskip(NEXT) | instid1(VALU_DEP_2)
	v_add_nc_u32_e32 v84, 0x800, v83
	v_add_nc_u32_e32 v86, 0x800, v85
	ds_store_2addr_b64 v83, v[4:5], v[102:103] offset1:68
	ds_store_2addr_b64 v83, v[104:105], v[106:107] offset0:136 offset1:204
	ds_store_2addr_b64 v84, v[92:93], v[98:99] offset0:16 offset1:84
	ds_store_b64 v83, v[96:97] offset:3264
	ds_store_2addr_b64 v85, v[6:7], v[113:114] offset1:68
	ds_store_2addr_b64 v85, v[115:116], v[119:120] offset0:136 offset1:204
	ds_store_2addr_b64 v86, v[94:95], v[90:91] offset0:16 offset1:84
	ds_store_b64 v85, v[87:88] offset:3264
	s_and_saveexec_b32 s1, s0
	s_cbranch_execz .LBB0_21
; %bb.20:
	v_add_f64_e32 v[4:5], v[50:51], v[78:79]
	v_add_f64_e32 v[6:7], v[46:47], v[62:63]
	v_add_f64_e64 v[87:88], v[64:65], -v[66:67]
	v_add_f64_e64 v[89:90], v[76:77], -v[80:81]
	v_add_f64_e32 v[91:92], v[54:55], v[58:59]
	v_add_f64_e64 v[93:94], v[74:75], -v[60:61]
	v_add_f64_e32 v[95:96], v[4:5], v[6:7]
	s_delay_alu instid0(VALU_DEP_4) | instskip(NEXT) | instid1(VALU_DEP_4)
	v_add_f64_e64 v[97:98], v[87:88], -v[89:90]
	v_add_f64_e64 v[99:100], v[6:7], -v[91:92]
	s_delay_alu instid0(VALU_DEP_4)
	v_add_f64_e64 v[101:102], v[89:90], -v[93:94]
	v_add_f64_e32 v[89:90], v[87:88], v[89:90]
	v_add_f64_e64 v[87:88], v[93:94], -v[87:88]
	v_add_f64_e32 v[95:96], v[91:92], v[95:96]
	v_add_f64_e64 v[91:92], v[91:92], -v[4:5]
	v_add_f64_e64 v[4:5], v[4:5], -v[6:7]
	v_mul_f64_e32 v[6:7], s[16:17], v[97:98]
	v_mul_f64_e32 v[97:98], s[14:15], v[99:100]
	;; [unrolled: 1-line block ×3, first 2 shown]
	v_add_f64_e32 v[89:90], v[89:90], v[93:94]
	v_add_f64_e32 v[103:104], v[117:118], v[95:96]
	v_mul_f64_e32 v[105:106], s[10:11], v[91:92]
	v_fma_f64 v[93:94], v[87:88], s[24:25], v[6:7]
	v_fma_f64 v[91:92], v[91:92], s[10:11], v[97:98]
	v_fma_f64 v[113:114], v[4:5], s[20:21], -v[97:98]
	v_fma_f64 v[87:88], v[87:88], s[22:23], -v[99:100]
	;; [unrolled: 1-line block ×3, first 2 shown]
	v_fma_f64 v[95:96], v[95:96], s[18:19], v[103:104]
	v_fma_f64 v[4:5], v[4:5], s[12:13], -v[105:106]
	v_fma_f64 v[93:94], v[89:90], s[26:27], v[93:94]
	v_fma_f64 v[87:88], v[89:90], s[26:27], v[87:88]
	;; [unrolled: 1-line block ×3, first 2 shown]
	v_add_f64_e32 v[91:92], v[91:92], v[95:96]
	v_add_f64_e32 v[89:90], v[113:114], v[95:96]
	;; [unrolled: 1-line block ×3, first 2 shown]
	s_delay_alu instid0(VALU_DEP_3) | instskip(NEXT) | instid1(VALU_DEP_3)
	v_add_f64_e32 v[99:100], v[93:94], v[91:92]
	v_add_f64_e64 v[95:96], v[89:90], -v[87:88]
	s_delay_alu instid0(VALU_DEP_3)
	v_add_f64_e64 v[97:98], v[4:5], -v[6:7]
	v_add_f64_e32 v[87:88], v[87:88], v[89:90]
	v_add_f64_e32 v[4:5], v[6:7], v[4:5]
	v_add_f64_e64 v[6:7], v[91:92], -v[93:94]
	v_add_nc_u32_e32 v89, 0x2800, v82
	v_add_nc_u32_e32 v90, 0x3000, v82
	ds_store_2addr_b64 v89, v[103:104], v[99:100] offset0:148 offset1:216
	ds_store_2addr_b64 v90, v[87:88], v[97:98] offset0:28 offset1:96
	;; [unrolled: 1-line block ×3, first 2 shown]
	ds_store_b64 v82, v[6:7] offset:14688
.LBB0_21:
	s_wait_alu 0xfffe
	s_or_b32 exec_lo, exec_lo, s1
	v_add_f64_e32 v[4:5], v[70:71], v[72:73]
	v_add_f64_e32 v[6:7], v[48:49], v[52:53]
	;; [unrolled: 1-line block ×5, first 2 shown]
	v_add_f64_e64 v[24:25], v[68:69], -v[24:25]
	v_add_f64_e64 v[8:9], v[8:9], -v[12:13]
	;; [unrolled: 1-line block ×4, first 2 shown]
	v_add_f64_e32 v[26:27], v[36:37], v[34:35]
	v_add_f64_e64 v[10:11], v[10:11], -v[14:15]
	v_add_f64_e64 v[14:15], v[18:19], -v[22:23]
	global_wb scope:SCOPE_SE
	s_wait_dscnt 0x0
	s_barrier_signal -1
	s_barrier_wait -1
	global_inv scope:SCOPE_SE
	v_add_f64_e32 v[16:17], v[6:7], v[4:5]
	v_add_f64_e32 v[18:19], v[40:41], v[38:39]
	v_add_f64_e64 v[22:23], v[4:5], -v[30:31]
	v_add_f64_e64 v[28:29], v[30:31], -v[6:7]
	;; [unrolled: 1-line block ×5, first 2 shown]
	v_add_f64_e32 v[6:7], v[8:9], v[24:25]
	v_add_f64_e64 v[36:37], v[10:11], -v[20:21]
	v_add_f64_e64 v[42:43], v[20:21], -v[14:15]
	;; [unrolled: 1-line block ×3, first 2 shown]
	v_add_f64_e32 v[20:21], v[10:11], v[20:21]
	v_add_f64_e32 v[16:17], v[30:31], v[16:17]
	v_add_f64_e64 v[30:31], v[38:39], -v[26:27]
	v_add_f64_e32 v[18:19], v[26:27], v[18:19]
	v_add_f64_e64 v[26:27], v[26:27], -v[40:41]
	v_mul_f64_e32 v[22:23], s[14:15], v[22:23]
	v_mul_f64_e32 v[24:25], s[10:11], v[28:29]
	;; [unrolled: 1-line block ×4, first 2 shown]
	v_add_f64_e32 v[6:7], v[6:7], v[12:13]
	v_add_f64_e32 v[12:13], v[20:21], v[14:15]
	;; [unrolled: 1-line block ×3, first 2 shown]
	v_add_f64_e64 v[0:1], v[14:15], -v[10:11]
	v_mul_f64_e32 v[10:11], s[14:15], v[30:31]
	v_mul_f64_e32 v[30:31], s[16:17], v[36:37]
	;; [unrolled: 1-line block ×3, first 2 shown]
	v_add_f64_e32 v[52:53], v[2:3], v[18:19]
	v_add_f64_e64 v[2:3], v[40:41], -v[38:39]
	v_mul_f64_e32 v[38:39], s[10:11], v[26:27]
	v_fma_f64 v[14:15], v[28:29], s[10:11], v[22:23]
	v_fma_f64 v[20:21], v[4:5], s[12:13], -v[24:25]
	v_fma_f64 v[24:25], v[8:9], s[24:25], v[32:33]
	v_fma_f64 v[28:29], v[34:35], s[4:5], -v[32:33]
	v_fma_f64 v[8:9], v[8:9], s[22:23], -v[44:45]
	;; [unrolled: 1-line block ×3, first 2 shown]
	v_fma_f64 v[16:17], v[16:17], s[18:19], v[48:49]
	v_fma_f64 v[22:23], v[26:27], s[10:11], v[10:11]
	;; [unrolled: 1-line block ×3, first 2 shown]
	v_fma_f64 v[30:31], v[42:43], s[4:5], -v[30:31]
	v_fma_f64 v[0:1], v[0:1], s[22:23], -v[36:37]
	v_fma_f64 v[18:19], v[18:19], s[18:19], v[52:53]
	v_fma_f64 v[10:11], v[2:3], s[20:21], -v[10:11]
	v_fma_f64 v[2:3], v[2:3], s[12:13], -v[38:39]
	v_fma_f64 v[24:25], v[6:7], s[26:27], v[24:25]
	v_fma_f64 v[28:29], v[6:7], s[26:27], v[28:29]
	;; [unrolled: 1-line block ×3, first 2 shown]
	v_add_f64_e32 v[8:9], v[14:15], v[16:17]
	v_add_f64_e32 v[4:5], v[4:5], v[16:17]
	v_add_f64_e32 v[14:15], v[20:21], v[16:17]
	v_fma_f64 v[16:17], v[12:13], s[26:27], v[26:27]
	v_fma_f64 v[20:21], v[12:13], s[26:27], v[30:31]
	;; [unrolled: 1-line block ×3, first 2 shown]
	v_add_f64_e32 v[12:13], v[22:23], v[18:19]
	v_add_f64_e32 v[10:11], v[10:11], v[18:19]
	;; [unrolled: 1-line block ×3, first 2 shown]
	v_add_f64_e64 v[32:33], v[8:9], -v[24:25]
	v_add_f64_e64 v[34:35], v[4:5], -v[6:7]
	v_add_f64_e32 v[36:37], v[28:29], v[14:15]
	v_add_f64_e64 v[38:39], v[14:15], -v[28:29]
	v_add_f64_e32 v[40:41], v[6:7], v[4:5]
	v_add_f64_e32 v[42:43], v[24:25], v[8:9]
	v_add_f64_e64 v[44:45], v[12:13], -v[16:17]
	v_add_f64_e64 v[68:69], v[10:11], -v[0:1]
	v_add_f64_e32 v[70:71], v[20:21], v[2:3]
	v_add_f64_e64 v[72:73], v[2:3], -v[20:21]
	v_add_f64_e32 v[87:88], v[0:1], v[10:11]
	v_add_f64_e32 v[89:90], v[16:17], v[12:13]
	v_add_nc_u32_e32 v4, 0xc00, v131
	v_add_nc_u32_e32 v5, 0x1c00, v131
	;; [unrolled: 1-line block ×7, first 2 shown]
	ds_load_2addr_b64 v[0:3], v131 offset1:119
	ds_load_2addr_b64 v[8:11], v4 offset0:92 offset1:211
	ds_load_2addr_b64 v[16:19], v5 offset0:56 offset1:175
	;; [unrolled: 1-line block ×7, first 2 shown]
	global_wb scope:SCOPE_SE
	s_wait_dscnt 0x0
	s_barrier_signal -1
	s_barrier_wait -1
	global_inv scope:SCOPE_SE
	ds_store_2addr_b64 v83, v[48:49], v[32:33] offset1:68
	ds_store_2addr_b64 v83, v[34:35], v[36:37] offset0:136 offset1:204
	ds_store_2addr_b64 v84, v[38:39], v[40:41] offset0:16 offset1:84
	ds_store_b64 v83, v[42:43] offset:3264
	ds_store_2addr_b64 v85, v[52:53], v[44:45] offset1:68
	ds_store_2addr_b64 v85, v[68:69], v[70:71] offset0:136 offset1:204
	ds_store_2addr_b64 v86, v[72:73], v[87:88] offset0:16 offset1:84
	ds_store_b64 v85, v[89:90] offset:3264
	s_and_saveexec_b32 s1, s0
	s_cbranch_execz .LBB0_23
; %bb.22:
	v_add_f64_e32 v[32:33], v[74:75], v[60:61]
	v_add_f64_e32 v[34:35], v[76:77], v[80:81]
	;; [unrolled: 1-line block ×3, first 2 shown]
	v_add_f64_e64 v[38:39], v[50:51], -v[78:79]
	v_add_f64_e64 v[40:41], v[58:59], -v[54:55]
	;; [unrolled: 1-line block ×3, first 2 shown]
	s_mov_b32 s4, 0x37e14327
	s_mov_b32 s5, 0x3fe948f6
	;; [unrolled: 1-line block ×8, first 2 shown]
	v_add_f64_e32 v[44:45], v[34:35], v[32:33]
	v_add_f64_e64 v[46:47], v[32:33], -v[36:37]
	v_add_f64_e64 v[48:49], v[36:37], -v[34:35]
	;; [unrolled: 1-line block ×5, first 2 shown]
	v_add_f64_e32 v[34:35], v[40:41], v[38:39]
	v_add_f64_e64 v[38:39], v[42:43], -v[40:41]
	v_add_f64_e32 v[36:37], v[36:37], v[44:45]
	s_wait_alu 0xfffe
	v_mul_f64_e32 v[40:41], s[4:5], v[46:47]
	s_mov_b32 s4, 0x429ad128
	v_mul_f64_e32 v[46:47], s[12:13], v[50:51]
	s_mov_b32 s5, 0x3febfeb5
	v_mul_f64_e32 v[44:45], s[10:11], v[48:49]
	s_wait_alu 0xfffe
	v_mul_f64_e32 v[50:51], s[4:5], v[52:53]
	s_mov_b32 s12, 0xaaaaaaaa
	s_mov_b32 s13, 0xbff2aaaa
	v_add_f64_e32 v[34:35], v[34:35], v[42:43]
	v_add_f64_e32 v[54:55], v[56:57], v[36:37]
	v_fma_f64 v[42:43], v[48:49], s[10:11], v[40:41]
	v_fma_f64 v[48:49], v[38:39], s[16:17], v[46:47]
	s_mov_b32 s17, 0xbfd5d0dc
	v_fma_f64 v[44:45], v[32:33], s[14:15], -v[44:45]
	s_mov_b32 s15, 0xbfe77f67
	v_fma_f64 v[46:47], v[52:53], s[4:5], -v[46:47]
	s_wait_alu 0xfffe
	v_fma_f64 v[38:39], v[38:39], s[16:17], -v[50:51]
	v_fma_f64 v[32:33], v[32:33], s[14:15], -v[40:41]
	s_mov_b32 s4, 0x37c3f68c
	s_mov_b32 s5, 0x3fdc38aa
	v_fma_f64 v[36:37], v[36:37], s[12:13], v[54:55]
	s_wait_alu 0xfffe
	v_fma_f64 v[40:41], v[34:35], s[4:5], v[48:49]
	v_fma_f64 v[46:47], v[34:35], s[4:5], v[46:47]
	v_fma_f64 v[34:35], v[34:35], s[4:5], v[38:39]
	s_delay_alu instid0(VALU_DEP_4) | instskip(SKIP_2) | instid1(VALU_DEP_3)
	v_add_f64_e32 v[38:39], v[42:43], v[36:37]
	v_add_f64_e32 v[32:33], v[32:33], v[36:37]
	;; [unrolled: 1-line block ×3, first 2 shown]
	v_add_f64_e64 v[42:43], v[38:39], -v[40:41]
	s_delay_alu instid0(VALU_DEP_3) | instskip(NEXT) | instid1(VALU_DEP_3)
	v_add_f64_e64 v[44:45], v[32:33], -v[34:35]
	v_add_f64_e32 v[48:49], v[46:47], v[36:37]
	v_add_f64_e64 v[36:37], v[36:37], -v[46:47]
	v_add_f64_e32 v[32:33], v[34:35], v[32:33]
	v_add_f64_e32 v[34:35], v[40:41], v[38:39]
	v_add_nc_u32_e32 v38, 0x2800, v82
	v_add_nc_u32_e32 v39, 0x3000, v82
	ds_store_2addr_b64 v38, v[54:55], v[42:43] offset0:148 offset1:216
	ds_store_2addr_b64 v39, v[44:45], v[48:49] offset0:28 offset1:96
	;; [unrolled: 1-line block ×3, first 2 shown]
	ds_store_b64 v82, v[34:35] offset:14688
.LBB0_23:
	s_wait_alu 0xfffe
	s_or_b32 exec_lo, exec_lo, s1
	global_wb scope:SCOPE_SE
	s_wait_dscnt 0x0
	s_barrier_signal -1
	s_barrier_wait -1
	global_inv scope:SCOPE_SE
	s_and_saveexec_b32 s0, vcc_lo
	s_cbranch_execz .LBB0_25
; %bb.24:
	v_mad_u32_u24 v103, v129, 3, 0xfffffe9b
	v_dual_mov_b32 v104, 0 :: v_dual_add_nc_u32 v107, 0x400, v131
	v_mul_u32_u24_e32 v34, 3, v129
	v_mul_u32_u24_e32 v35, 3, v112
	v_add_nc_u32_e32 v80, 0x1400, v131
	s_delay_alu instid0(VALU_DEP_4)
	v_lshlrev_b64_e32 v[32:33], 4, v[103:104]
	v_mad_u32_u24 v103, v129, 3, 0xfffffd36
	v_lshlrev_b32_e32 v40, 4, v34
	v_lshlrev_b32_e32 v76, 4, v35
	v_add_nc_u32_e32 v84, 0x3000, v131
	v_add_nc_u32_e32 v88, 0x2400, v131
	v_lshlrev_b64_e32 v[62:63], 4, v[103:104]
	v_add_co_u32 v60, vcc_lo, s8, v32
	s_wait_alu 0xfffd
	v_add_co_ci_u32_e32 v61, vcc_lo, s9, v33, vcc_lo
	s_clause 0x2
	global_load_b128 v[32:35], v40, s[8:9] offset:7360
	global_load_b128 v[36:39], v40, s[8:9] offset:7344
	;; [unrolled: 1-line block ×3, first 2 shown]
	v_add_co_u32 v72, vcc_lo, s8, v62
	s_clause 0x3
	global_load_b128 v[44:47], v[60:61], off offset:7360
	global_load_b128 v[48:51], v76, s[8:9] offset:7376
	global_load_b128 v[52:55], v76, s[8:9] offset:7360
	global_load_b128 v[56:59], v[60:61], off offset:7344
	s_wait_alu 0xfffd
	v_add_co_ci_u32_e32 v73, vcc_lo, s9, v63, vcc_lo
	s_clause 0x4
	global_load_b128 v[60:63], v[60:61], off offset:7376
	global_load_b128 v[64:67], v[72:73], off offset:7360
	;; [unrolled: 1-line block ×4, first 2 shown]
	global_load_b128 v[76:79], v76, s[8:9] offset:7344
	v_add_nc_u32_e32 v92, 0x2c00, v131
	v_add_nc_u32_e32 v96, 0x1c00, v131
	;; [unrolled: 1-line block ×3, first 2 shown]
	ds_load_2addr_b64 v[80:83], v80 offset0:74 offset1:193
	ds_load_2addr_b64 v[84:87], v84 offset0:130 offset1:249
	;; [unrolled: 1-line block ×6, first 2 shown]
	s_wait_loadcnt 0xb
	v_mul_f64_e32 v[105:106], v[22:23], v[34:35]
	s_wait_loadcnt_dscnt 0xa05
	v_mul_f64_e32 v[113:114], v[82:83], v[38:39]
	s_wait_loadcnt_dscnt 0x904
	v_mul_f64_e32 v[115:116], v[86:87], v[42:43]
	s_wait_dscnt 0x3
	v_mul_f64_e32 v[34:35], v[90:91], v[34:35]
	v_mul_f64_e32 v[38:39], v[26:27], v[38:39]
	;; [unrolled: 1-line block ×3, first 2 shown]
	s_wait_loadcnt 0x6
	v_mul_f64_e32 v[117:118], v[16:17], v[54:55]
	s_wait_dscnt 0x1
	v_mul_f64_e32 v[54:55], v[96:97], v[54:55]
	v_mul_f64_e32 v[121:122], v[20:21], v[46:47]
	s_wait_loadcnt 0x5
	v_mul_f64_e32 v[123:124], v[80:81], v[58:59]
	s_wait_loadcnt 0x4
	v_mul_f64_e32 v[125:126], v[84:85], v[62:63]
	v_mul_f64_e32 v[46:47], v[88:89], v[46:47]
	;; [unrolled: 1-line block ×6, first 2 shown]
	s_wait_loadcnt 0x3
	v_mul_f64_e32 v[127:128], v[18:19], v[66:67]
	s_wait_loadcnt_dscnt 0x200
	v_mul_f64_e32 v[132:133], v[102:103], v[70:71]
	v_mul_f64_e32 v[70:71], v[10:11], v[70:71]
	s_wait_loadcnt 0x1
	v_mul_f64_e32 v[134:135], v[14:15], v[74:75]
	v_mul_f64_e32 v[66:67], v[98:99], v[66:67]
	s_wait_loadcnt 0x0
	v_mul_f64_e32 v[136:137], v[8:9], v[78:79]
	v_mul_f64_e32 v[78:79], v[100:101], v[78:79]
	;; [unrolled: 1-line block ×3, first 2 shown]
	v_fma_f64 v[90:91], v[90:91], v[32:33], v[105:106]
	v_fma_f64 v[26:27], v[26:27], v[36:37], -v[113:114]
	v_mov_b32_e32 v113, v104
	v_fma_f64 v[22:23], v[22:23], v[32:33], -v[34:35]
	v_fma_f64 v[32:33], v[36:37], v[82:83], v[38:39]
	v_fma_f64 v[34:35], v[40:41], v[86:87], v[42:43]
	;; [unrolled: 1-line block ×3, first 2 shown]
	v_fma_f64 v[16:17], v[16:17], v[52:53], -v[54:55]
	v_fma_f64 v[42:43], v[88:89], v[44:45], v[121:122]
	v_fma_f64 v[24:25], v[24:25], v[56:57], -v[123:124]
	v_fma_f64 v[28:29], v[28:29], v[60:61], -v[125:126]
	;; [unrolled: 1-line block ×3, first 2 shown]
	v_fma_f64 v[44:45], v[56:57], v[80:81], v[58:59]
	v_fma_f64 v[46:47], v[60:61], v[84:85], v[62:63]
	v_fma_f64 v[30:31], v[30:31], v[40:41], -v[115:116]
	v_fma_f64 v[38:39], v[12:13], v[48:49], -v[119:120]
	v_fma_f64 v[40:41], v[48:49], v[92:93], v[50:51]
	v_fma_f64 v[48:49], v[98:99], v[64:65], v[127:128]
	;; [unrolled: 1-line block ×4, first 2 shown]
	v_fma_f64 v[18:19], v[18:19], v[64:65], -v[66:67]
	v_fma_f64 v[56:57], v[76:77], v[100:101], v[136:137]
	v_fma_f64 v[58:59], v[8:9], v[76:77], -v[78:79]
	v_fma_f64 v[50:51], v[10:11], v[68:69], -v[132:133]
	;; [unrolled: 1-line block ×3, first 2 shown]
	ds_load_2addr_b64 v[8:11], v107 offset0:110 offset1:229
	ds_load_2addr_b64 v[12:15], v131 offset1:119
	v_lshlrev_b64_e32 v[82:83], 4, v[108:109]
	v_lshlrev_b64_e32 v[84:85], 4, v[112:113]
	v_add_f64_e64 v[64:65], v[6:7], -v[22:23]
	v_add_f64_e64 v[34:35], v[32:33], -v[34:35]
	s_wait_dscnt 0x1
	v_add_f64_e64 v[62:63], v[10:11], -v[90:91]
	s_wait_dscnt 0x0
	v_add_f64_e64 v[66:67], v[12:13], -v[36:37]
	v_add_f64_e64 v[68:69], v[0:1], -v[16:17]
	;; [unrolled: 1-line block ×13, first 2 shown]
	v_fma_f64 v[60:61], v[6:7], 2.0, -v[64:65]
	v_fma_f64 v[32:33], v[32:33], 2.0, -v[34:35]
	;; [unrolled: 1-line block ×6, first 2 shown]
	v_add_f64_e64 v[0:1], v[64:65], -v[34:35]
	v_fma_f64 v[76:77], v[4:5], 2.0, -v[42:43]
	v_fma_f64 v[24:25], v[24:25], 2.0, -v[20:21]
	v_fma_f64 v[40:41], v[44:45], 2.0, -v[16:17]
	v_fma_f64 v[26:27], v[26:27], 2.0, -v[22:23]
	v_add_f64_e32 v[6:7], v[36:37], v[20:21]
	v_add_f64_e64 v[4:5], v[42:43], -v[16:17]
	v_fma_f64 v[78:79], v[14:15], 2.0, -v[46:47]
	v_mul_lo_u32 v34, s3, v110
	v_fma_f64 v[44:45], v[52:53], 2.0, -v[28:29]
	v_fma_f64 v[80:81], v[2:3], 2.0, -v[48:49]
	;; [unrolled: 1-line block ×4, first 2 shown]
	v_add_f64_e32 v[14:15], v[66:67], v[30:31]
	v_fma_f64 v[50:51], v[50:51], 2.0, -v[38:39]
	v_add_f64_e32 v[10:11], v[46:47], v[38:39]
	v_add_f64_e64 v[12:13], v[68:69], -v[18:19]
	v_add_f64_e64 v[8:9], v[48:49], -v[28:29]
	v_add_f64_e32 v[2:3], v[62:63], v[22:23]
	v_mul_hi_u32 v38, 0x44d72045, v130
	v_mul_hi_u32 v39, 0x44d72045, v129
	v_mul_lo_u32 v35, s2, v111
	s_delay_alu instid0(VALU_DEP_3) | instskip(NEXT) | instid1(VALU_DEP_3)
	v_lshrrev_b32_e32 v88, 7, v38
	v_lshrrev_b32_e32 v89, 7, v39
	s_delay_alu instid0(VALU_DEP_2)
	v_mul_u32_u24_e32 v103, 0x594, v88
	v_add_f64_e64 v[18:19], v[54:55], -v[32:33]
	v_mad_co_u64_u32 v[32:33], null, s2, v110, 0
	v_add_f64_e64 v[20:21], v[76:77], -v[24:25]
	v_add_f64_e64 v[22:23], v[74:75], -v[40:41]
	;; [unrolled: 1-line block ×3, first 2 shown]
	v_fma_f64 v[38:39], v[36:37], 2.0, -v[6:7]
	v_fma_f64 v[36:37], v[42:43], 2.0, -v[4:5]
	v_add3_u32 v33, v33, v35, v34
	v_add_f64_e64 v[26:27], v[78:79], -v[44:45]
	v_add_f64_e64 v[30:31], v[70:71], -v[52:53]
	;; [unrolled: 1-line block ×3, first 2 shown]
	s_delay_alu instid0(VALU_DEP_4)
	v_lshlrev_b64_e32 v[86:87], 4, v[32:33]
	v_add_f64_e64 v[24:25], v[80:81], -v[50:51]
	v_fma_f64 v[42:43], v[46:47], 2.0, -v[10:11]
	v_fma_f64 v[46:47], v[66:67], 2.0, -v[14:15]
	;; [unrolled: 1-line block ×6, first 2 shown]
	v_add_co_u32 v66, vcc_lo, s6, v86
	s_wait_alu 0xfffd
	v_add_co_ci_u32_e32 v67, vcc_lo, s7, v87, vcc_lo
	v_lshlrev_b64_e32 v[64:65], 4, v[103:104]
	s_delay_alu instid0(VALU_DEP_3) | instskip(SKIP_1) | instid1(VALU_DEP_3)
	v_add_co_u32 v66, vcc_lo, v66, v82
	s_wait_alu 0xfffd
	v_add_co_ci_u32_e32 v67, vcc_lo, v67, v83, vcc_lo
	v_mul_u32_u24_e32 v103, 0x594, v89
	s_delay_alu instid0(VALU_DEP_3) | instskip(SKIP_1) | instid1(VALU_DEP_3)
	v_add_co_u32 v66, vcc_lo, v66, v84
	s_wait_alu 0xfffd
	v_add_co_ci_u32_e32 v67, vcc_lo, v67, v85, vcc_lo
	v_fma_f64 v[50:51], v[54:55], 2.0, -v[18:19]
	v_lshlrev_b64_e32 v[68:69], 4, v[103:104]
	v_add_co_u32 v64, vcc_lo, v66, v64
	s_wait_alu 0xfffd
	v_add_co_ci_u32_e32 v65, vcc_lo, v67, v65, vcc_lo
	v_fma_f64 v[54:55], v[74:75], 2.0, -v[22:23]
	v_fma_f64 v[52:53], v[76:77], 2.0, -v[20:21]
	;; [unrolled: 1-line block ×3, first 2 shown]
	v_add_co_u32 v68, vcc_lo, v66, v68
	s_wait_alu 0xfffd
	v_add_co_ci_u32_e32 v69, vcc_lo, v67, v69, vcc_lo
	v_fma_f64 v[58:59], v[78:79], 2.0, -v[26:27]
	v_fma_f64 v[62:63], v[70:71], 2.0, -v[30:31]
	;; [unrolled: 1-line block ×4, first 2 shown]
	s_clause 0xf
	global_store_b128 v[66:67], v[12:15], off offset:22848
	global_store_b128 v[66:67], v[8:11], off offset:24752
	;; [unrolled: 1-line block ×12, first 2 shown]
	global_store_b128 v[66:67], v[60:63], off
	global_store_b128 v[66:67], v[56:59], off offset:1904
	global_store_b128 v[68:69], v[16:19], off offset:20944
	;; [unrolled: 1-line block ×3, first 2 shown]
.LBB0_25:
	s_nop 0
	s_sendmsg sendmsg(MSG_DEALLOC_VGPRS)
	s_endpgm
	.section	.rodata,"a",@progbits
	.p2align	6, 0x0
	.amdhsa_kernel fft_rtc_fwd_len1904_factors_17_2_2_7_4_wgs_119_tpt_119_halfLds_dp_op_CI_CI_unitstride_sbrr_dirReg
		.amdhsa_group_segment_fixed_size 0
		.amdhsa_private_segment_fixed_size 0
		.amdhsa_kernarg_size 104
		.amdhsa_user_sgpr_count 2
		.amdhsa_user_sgpr_dispatch_ptr 0
		.amdhsa_user_sgpr_queue_ptr 0
		.amdhsa_user_sgpr_kernarg_segment_ptr 1
		.amdhsa_user_sgpr_dispatch_id 0
		.amdhsa_user_sgpr_private_segment_size 0
		.amdhsa_wavefront_size32 1
		.amdhsa_uses_dynamic_stack 0
		.amdhsa_enable_private_segment 0
		.amdhsa_system_sgpr_workgroup_id_x 1
		.amdhsa_system_sgpr_workgroup_id_y 0
		.amdhsa_system_sgpr_workgroup_id_z 0
		.amdhsa_system_sgpr_workgroup_info 0
		.amdhsa_system_vgpr_workitem_id 0
		.amdhsa_next_free_vgpr 213
		.amdhsa_next_free_sgpr 58
		.amdhsa_reserve_vcc 1
		.amdhsa_float_round_mode_32 0
		.amdhsa_float_round_mode_16_64 0
		.amdhsa_float_denorm_mode_32 3
		.amdhsa_float_denorm_mode_16_64 3
		.amdhsa_fp16_overflow 0
		.amdhsa_workgroup_processor_mode 1
		.amdhsa_memory_ordered 1
		.amdhsa_forward_progress 0
		.amdhsa_round_robin_scheduling 0
		.amdhsa_exception_fp_ieee_invalid_op 0
		.amdhsa_exception_fp_denorm_src 0
		.amdhsa_exception_fp_ieee_div_zero 0
		.amdhsa_exception_fp_ieee_overflow 0
		.amdhsa_exception_fp_ieee_underflow 0
		.amdhsa_exception_fp_ieee_inexact 0
		.amdhsa_exception_int_div_zero 0
	.end_amdhsa_kernel
	.text
.Lfunc_end0:
	.size	fft_rtc_fwd_len1904_factors_17_2_2_7_4_wgs_119_tpt_119_halfLds_dp_op_CI_CI_unitstride_sbrr_dirReg, .Lfunc_end0-fft_rtc_fwd_len1904_factors_17_2_2_7_4_wgs_119_tpt_119_halfLds_dp_op_CI_CI_unitstride_sbrr_dirReg
                                        ; -- End function
	.section	.AMDGPU.csdata,"",@progbits
; Kernel info:
; codeLenInByte = 15000
; NumSgprs: 60
; NumVgprs: 213
; ScratchSize: 0
; MemoryBound: 1
; FloatMode: 240
; IeeeMode: 1
; LDSByteSize: 0 bytes/workgroup (compile time only)
; SGPRBlocks: 7
; VGPRBlocks: 26
; NumSGPRsForWavesPerEU: 60
; NumVGPRsForWavesPerEU: 213
; Occupancy: 7
; WaveLimiterHint : 1
; COMPUTE_PGM_RSRC2:SCRATCH_EN: 0
; COMPUTE_PGM_RSRC2:USER_SGPR: 2
; COMPUTE_PGM_RSRC2:TRAP_HANDLER: 0
; COMPUTE_PGM_RSRC2:TGID_X_EN: 1
; COMPUTE_PGM_RSRC2:TGID_Y_EN: 0
; COMPUTE_PGM_RSRC2:TGID_Z_EN: 0
; COMPUTE_PGM_RSRC2:TIDIG_COMP_CNT: 0
	.text
	.p2alignl 7, 3214868480
	.fill 96, 4, 3214868480
	.type	__hip_cuid_b26d7970dd34e1c2,@object ; @__hip_cuid_b26d7970dd34e1c2
	.section	.bss,"aw",@nobits
	.globl	__hip_cuid_b26d7970dd34e1c2
__hip_cuid_b26d7970dd34e1c2:
	.byte	0                               ; 0x0
	.size	__hip_cuid_b26d7970dd34e1c2, 1

	.ident	"AMD clang version 19.0.0git (https://github.com/RadeonOpenCompute/llvm-project roc-6.4.0 25133 c7fe45cf4b819c5991fe208aaa96edf142730f1d)"
	.section	".note.GNU-stack","",@progbits
	.addrsig
	.addrsig_sym __hip_cuid_b26d7970dd34e1c2
	.amdgpu_metadata
---
amdhsa.kernels:
  - .args:
      - .actual_access:  read_only
        .address_space:  global
        .offset:         0
        .size:           8
        .value_kind:     global_buffer
      - .offset:         8
        .size:           8
        .value_kind:     by_value
      - .actual_access:  read_only
        .address_space:  global
        .offset:         16
        .size:           8
        .value_kind:     global_buffer
      - .actual_access:  read_only
        .address_space:  global
        .offset:         24
        .size:           8
        .value_kind:     global_buffer
      - .actual_access:  read_only
        .address_space:  global
        .offset:         32
        .size:           8
        .value_kind:     global_buffer
      - .offset:         40
        .size:           8
        .value_kind:     by_value
      - .actual_access:  read_only
        .address_space:  global
        .offset:         48
        .size:           8
        .value_kind:     global_buffer
      - .actual_access:  read_only
        .address_space:  global
        .offset:         56
        .size:           8
        .value_kind:     global_buffer
      - .offset:         64
        .size:           4
        .value_kind:     by_value
      - .actual_access:  read_only
        .address_space:  global
        .offset:         72
        .size:           8
        .value_kind:     global_buffer
      - .actual_access:  read_only
        .address_space:  global
        .offset:         80
        .size:           8
        .value_kind:     global_buffer
      - .actual_access:  read_only
        .address_space:  global
        .offset:         88
        .size:           8
        .value_kind:     global_buffer
      - .actual_access:  write_only
        .address_space:  global
        .offset:         96
        .size:           8
        .value_kind:     global_buffer
    .group_segment_fixed_size: 0
    .kernarg_segment_align: 8
    .kernarg_segment_size: 104
    .language:       OpenCL C
    .language_version:
      - 2
      - 0
    .max_flat_workgroup_size: 119
    .name:           fft_rtc_fwd_len1904_factors_17_2_2_7_4_wgs_119_tpt_119_halfLds_dp_op_CI_CI_unitstride_sbrr_dirReg
    .private_segment_fixed_size: 0
    .sgpr_count:     60
    .sgpr_spill_count: 0
    .symbol:         fft_rtc_fwd_len1904_factors_17_2_2_7_4_wgs_119_tpt_119_halfLds_dp_op_CI_CI_unitstride_sbrr_dirReg.kd
    .uniform_work_group_size: 1
    .uses_dynamic_stack: false
    .vgpr_count:     213
    .vgpr_spill_count: 0
    .wavefront_size: 32
    .workgroup_processor_mode: 1
amdhsa.target:   amdgcn-amd-amdhsa--gfx1201
amdhsa.version:
  - 1
  - 2
...

	.end_amdgpu_metadata
